;; amdgpu-corpus repo=ROCm/rocFFT kind=compiled arch=gfx906 opt=O3
	.text
	.amdgcn_target "amdgcn-amd-amdhsa--gfx906"
	.amdhsa_code_object_version 6
	.protected	bluestein_single_back_len306_dim1_half_op_CI_CI ; -- Begin function bluestein_single_back_len306_dim1_half_op_CI_CI
	.globl	bluestein_single_back_len306_dim1_half_op_CI_CI
	.p2align	8
	.type	bluestein_single_back_len306_dim1_half_op_CI_CI,@function
bluestein_single_back_len306_dim1_half_op_CI_CI: ; @bluestein_single_back_len306_dim1_half_op_CI_CI
; %bb.0:
	v_mul_u32_u24_e32 v1, 0x788, v0
	s_load_dwordx4 s[0:3], s[4:5], 0x28
	v_lshrrev_b32_e32 v1, 16, v1
	v_mad_u64_u32 v[8:9], s[6:7], s6, 7, v[1:2]
	v_mov_b32_e32 v9, 0
	s_waitcnt lgkmcnt(0)
	v_cmp_gt_u64_e32 vcc, s[0:1], v[8:9]
	s_and_saveexec_b64 s[0:1], vcc
	s_cbranch_execz .LBB0_23
; %bb.1:
	s_mov_b32 s0, 0x24924925
	v_mul_hi_u32 v2, v8, s0
	s_load_dwordx2 s[6:7], s[4:5], 0x0
	s_load_dwordx2 s[12:13], s[4:5], 0x38
	v_mul_lo_u16_e32 v1, 34, v1
	v_sub_u16_e32 v26, v0, v1
	v_sub_u32_e32 v3, v8, v2
	v_lshrrev_b32_e32 v3, 1, v3
	v_add_u32_e32 v2, v3, v2
	v_lshrrev_b32_e32 v2, 2, v2
	v_mul_lo_u32 v2, v2, 7
	v_cmp_gt_u16_e64 s[0:1], 18, v26
	v_lshlrev_b32_e32 v27, 2, v26
	v_sub_u32_e32 v0, v8, v2
	v_mul_u32_u24_e32 v30, 0x132, v0
	v_lshlrev_b32_e32 v28, 2, v30
	s_and_saveexec_b64 s[14:15], s[0:1]
	s_cbranch_execz .LBB0_3
; %bb.2:
	s_load_dwordx2 s[8:9], s[4:5], 0x18
	v_lshl_add_u32 v15, v26, 2, v28
	v_or_b32_e32 v35, 0x120, v26
	v_add_u32_e32 v16, v28, v27
	s_waitcnt lgkmcnt(0)
	s_load_dwordx4 s[8:11], s[8:9], 0x0
	s_waitcnt lgkmcnt(0)
	v_mad_u64_u32 v[0:1], s[16:17], s10, v8, 0
	v_mad_u64_u32 v[2:3], s[16:17], s8, v26, 0
	;; [unrolled: 1-line block ×4, first 2 shown]
	v_mov_b32_e32 v1, v4
	v_lshlrev_b64 v[0:1], 2, v[0:1]
	v_mov_b32_e32 v3, v5
	v_mov_b32_e32 v6, s3
	v_lshlrev_b64 v[2:3], 2, v[2:3]
	v_add_co_u32_e32 v5, vcc, s2, v0
	v_addc_co_u32_e32 v6, vcc, v6, v1, vcc
	v_add_co_u32_e32 v0, vcc, v5, v2
	s_mul_i32 s2, s9, 0x48
	s_mul_hi_u32 s3, s8, 0x48
	v_addc_co_u32_e32 v1, vcc, v6, v3, vcc
	s_add_i32 s2, s3, s2
	s_mul_i32 s3, s8, 0x48
	v_mov_b32_e32 v3, s2
	v_add_co_u32_e32 v2, vcc, s3, v0
	v_addc_co_u32_e32 v3, vcc, v1, v3, vcc
	global_load_dword v4, v[0:1], off
	global_load_dword v7, v[2:3], off
	global_load_dword v9, v27, s[6:7]
	global_load_dword v10, v27, s[6:7] offset:72
	v_mov_b32_e32 v1, s2
	v_add_co_u32_e32 v0, vcc, s3, v2
	v_addc_co_u32_e32 v1, vcc, v3, v1, vcc
	global_load_dword v2, v[0:1], off
	global_load_dword v3, v27, s[6:7] offset:144
	v_mov_b32_e32 v11, s2
	v_add_co_u32_e32 v0, vcc, s3, v0
	v_addc_co_u32_e32 v1, vcc, v1, v11, vcc
	global_load_dword v11, v[0:1], off
	;; [unrolled: 5-line block ×3, first 2 shown]
	global_load_dword v14, v27, s[6:7] offset:288
	v_mov_b32_e32 v20, s2
	v_add_co_u32_e32 v0, vcc, s3, v0
	v_addc_co_u32_e32 v1, vcc, v1, v20, vcc
	global_load_dword v17, v27, s[6:7] offset:360
	global_load_dword v18, v27, s[6:7] offset:432
	;; [unrolled: 1-line block ×3, first 2 shown]
	global_load_dword v20, v[0:1], off
	v_mov_b32_e32 v21, s2
	v_add_co_u32_e32 v0, vcc, s3, v0
	v_addc_co_u32_e32 v1, vcc, v1, v21, vcc
	global_load_dword v21, v[0:1], off
	v_mov_b32_e32 v22, s2
	v_add_co_u32_e32 v0, vcc, s3, v0
	v_addc_co_u32_e32 v1, vcc, v1, v22, vcc
	v_mov_b32_e32 v23, s2
	global_load_dword v22, v[0:1], off
	v_add_co_u32_e32 v0, vcc, s3, v0
	v_addc_co_u32_e32 v1, vcc, v1, v23, vcc
	v_mov_b32_e32 v37, s2
	v_mov_b32_e32 v40, s2
	s_waitcnt vmcnt(15)
	v_lshrrev_b32_e32 v24, 16, v4
	s_waitcnt vmcnt(13)
	v_mul_f16_sdwa v25, v9, v4 dst_sel:DWORD dst_unused:UNUSED_PAD src0_sel:WORD_1 src1_sel:DWORD
	v_mul_f16_sdwa v29, v9, v24 dst_sel:DWORD dst_unused:UNUSED_PAD src0_sel:WORD_1 src1_sel:DWORD
	v_fma_f16 v24, v9, v24, -v25
	v_lshrrev_b32_e32 v25, 16, v7
	s_waitcnt vmcnt(12)
	v_mul_f16_sdwa v31, v10, v7 dst_sel:DWORD dst_unused:UNUSED_PAD src0_sel:WORD_1 src1_sel:DWORD
	v_fma_f16 v4, v9, v4, v29
	v_mul_f16_sdwa v9, v10, v25 dst_sel:DWORD dst_unused:UNUSED_PAD src0_sel:WORD_1 src1_sel:DWORD
	s_waitcnt vmcnt(11)
	v_lshrrev_b32_e32 v29, 16, v2
	v_fma_f16 v25, v10, v25, -v31
	s_waitcnt vmcnt(10)
	v_mul_f16_sdwa v31, v3, v2 dst_sel:DWORD dst_unused:UNUSED_PAD src0_sel:WORD_1 src1_sel:DWORD
	v_pack_b32_f16 v4, v4, v24
	v_fma_f16 v7, v10, v7, v9
	v_mul_f16_sdwa v9, v3, v29 dst_sel:DWORD dst_unused:UNUSED_PAD src0_sel:WORD_1 src1_sel:DWORD
	s_waitcnt vmcnt(9)
	v_lshrrev_b32_e32 v24, 16, v11
	v_fma_f16 v10, v3, v29, -v31
	s_waitcnt vmcnt(8)
	v_mul_f16_sdwa v29, v12, v11 dst_sel:DWORD dst_unused:UNUSED_PAD src0_sel:WORD_1 src1_sel:DWORD
	v_fma_f16 v2, v3, v2, v9
	v_mul_f16_sdwa v3, v12, v24 dst_sel:DWORD dst_unused:UNUSED_PAD src0_sel:WORD_1 src1_sel:DWORD
	v_fma_f16 v9, v12, v24, -v29
	v_pack_b32_f16 v10, v2, v10
	v_fma_f16 v11, v12, v11, v3
	global_load_dword v12, v[0:1], off
	v_mov_b32_e32 v2, s2
	v_add_co_u32_e32 v0, vcc, s3, v0
	ds_write_b32 v15, v4
	v_addc_co_u32_e32 v1, vcc, v1, v2, vcc
	v_pack_b32_f16 v7, v7, v25
	global_load_dword v23, v[0:1], off
	global_load_dword v25, v27, s[6:7] offset:576
	v_add_co_u32_e32 v0, vcc, s3, v0
	v_addc_co_u32_e32 v1, vcc, v1, v2, vcc
	global_load_dword v29, v[0:1], off
	v_add_co_u32_e32 v0, vcc, s3, v0
	v_addc_co_u32_e32 v1, vcc, v1, v2, vcc
	global_load_dword v31, v27, s[6:7] offset:648
	global_load_dword v32, v[0:1], off
	global_load_dword v33, v27, s[6:7] offset:720
	v_add_co_u32_e32 v0, vcc, s3, v0
	global_load_dword v36, v27, s[6:7] offset:792
	global_load_dword v38, v27, s[6:7] offset:864
	v_addc_co_u32_e32 v1, vcc, v1, v2, vcc
	global_load_dword v34, v[0:1], off
	v_mad_u64_u32 v[2:3], s[10:11], s8, v35, 0
	v_mov_b32_e32 v4, s2
	v_add_co_u32_e32 v0, vcc, s3, v0
	v_addc_co_u32_e32 v1, vcc, v1, v4, vcc
	v_mad_u64_u32 v[3:4], s[8:9], s9, v35, v[3:4]
	global_load_dword v4, v[0:1], off
	global_load_dword v35, v27, s[6:7] offset:936
	v_add_co_u32_e32 v0, vcc, s3, v0
	v_addc_co_u32_e32 v1, vcc, v1, v37, vcc
	global_load_dword v37, v[0:1], off
	global_load_dword v39, v27, s[6:7] offset:1008
	v_add_co_u32_e32 v0, vcc, s3, v0
	v_lshlrev_b64 v[2:3], 2, v[2:3]
	v_addc_co_u32_e32 v1, vcc, v1, v40, vcc
	global_load_dword v40, v[0:1], off
	global_load_dword v41, v27, s[6:7] offset:1080
	v_add_co_u32_e32 v0, vcc, v5, v2
	v_addc_co_u32_e32 v1, vcc, v6, v3, vcc
	global_load_dword v2, v[0:1], off
	global_load_dword v3, v27, s[6:7] offset:1152
	s_waitcnt vmcnt(25)
	v_lshrrev_b32_e32 v15, 16, v13
	s_waitcnt vmcnt(24)
	v_mul_f16_sdwa v24, v14, v13 dst_sel:DWORD dst_unused:UNUSED_PAD src0_sel:WORD_1 src1_sel:DWORD
	v_mul_f16_sdwa v0, v14, v15 dst_sel:DWORD dst_unused:UNUSED_PAD src0_sel:WORD_1 src1_sel:DWORD
	v_fma_f16 v1, v14, v15, -v24
	v_fma_f16 v0, v14, v13, v0
	v_pack_b32_f16 v5, v11, v9
	v_pack_b32_f16 v0, v0, v1
	ds_write2_b32 v16, v5, v0 offset0:54 offset1:72
	s_waitcnt vmcnt(20)
	v_lshrrev_b32_e32 v0, 16, v20
	v_mul_f16_sdwa v1, v17, v0 dst_sel:DWORD dst_unused:UNUSED_PAD src0_sel:WORD_1 src1_sel:DWORD
	v_mul_f16_sdwa v5, v17, v20 dst_sel:DWORD dst_unused:UNUSED_PAD src0_sel:WORD_1 src1_sel:DWORD
	v_fma_f16 v1, v17, v20, v1
	v_fma_f16 v0, v17, v0, -v5
	v_pack_b32_f16 v0, v1, v0
	s_waitcnt vmcnt(19)
	v_lshrrev_b32_e32 v1, 16, v21
	v_mul_f16_sdwa v5, v18, v1 dst_sel:DWORD dst_unused:UNUSED_PAD src0_sel:WORD_1 src1_sel:DWORD
	v_mul_f16_sdwa v6, v18, v21 dst_sel:DWORD dst_unused:UNUSED_PAD src0_sel:WORD_1 src1_sel:DWORD
	v_fma_f16 v5, v18, v21, v5
	v_fma_f16 v1, v18, v1, -v6
	v_pack_b32_f16 v1, v5, v1
	ds_write2_b32 v16, v0, v1 offset0:90 offset1:108
	s_waitcnt vmcnt(18)
	v_lshrrev_b32_e32 v0, 16, v22
	v_mul_f16_sdwa v1, v19, v0 dst_sel:DWORD dst_unused:UNUSED_PAD src0_sel:WORD_1 src1_sel:DWORD
	v_mul_f16_sdwa v5, v19, v22 dst_sel:DWORD dst_unused:UNUSED_PAD src0_sel:WORD_1 src1_sel:DWORD
	v_fma_f16 v1, v19, v22, v1
	v_fma_f16 v0, v19, v0, -v5
	v_pack_b32_f16 v0, v1, v0
	ds_write2_b32 v16, v7, v10 offset0:18 offset1:36
	s_waitcnt vmcnt(17)
	v_lshrrev_b32_e32 v1, 16, v12
	s_waitcnt vmcnt(15)
	v_mul_f16_sdwa v5, v25, v1 dst_sel:DWORD dst_unused:UNUSED_PAD src0_sel:WORD_1 src1_sel:DWORD
	v_mul_f16_sdwa v6, v25, v12 dst_sel:DWORD dst_unused:UNUSED_PAD src0_sel:WORD_1 src1_sel:DWORD
	v_fma_f16 v5, v25, v12, v5
	v_fma_f16 v1, v25, v1, -v6
	v_pack_b32_f16 v1, v5, v1
	ds_write2_b32 v16, v0, v1 offset0:126 offset1:144
	v_lshrrev_b32_e32 v0, 16, v23
	s_waitcnt vmcnt(13)
	v_mul_f16_sdwa v1, v31, v0 dst_sel:DWORD dst_unused:UNUSED_PAD src0_sel:WORD_1 src1_sel:DWORD
	v_mul_f16_sdwa v5, v31, v23 dst_sel:DWORD dst_unused:UNUSED_PAD src0_sel:WORD_1 src1_sel:DWORD
	v_fma_f16 v1, v31, v23, v1
	v_fma_f16 v0, v31, v0, -v5
	v_pack_b32_f16 v0, v1, v0
	v_lshrrev_b32_e32 v1, 16, v29
	s_waitcnt vmcnt(11)
	v_mul_f16_sdwa v5, v33, v1 dst_sel:DWORD dst_unused:UNUSED_PAD src0_sel:WORD_1 src1_sel:DWORD
	v_mul_f16_sdwa v6, v33, v29 dst_sel:DWORD dst_unused:UNUSED_PAD src0_sel:WORD_1 src1_sel:DWORD
	v_fma_f16 v5, v33, v29, v5
	v_fma_f16 v1, v33, v1, -v6
	v_pack_b32_f16 v1, v5, v1
	ds_write2_b32 v16, v0, v1 offset0:162 offset1:180
	v_lshrrev_b32_e32 v0, 16, v32
	s_waitcnt vmcnt(10)
	v_mul_f16_sdwa v1, v36, v0 dst_sel:DWORD dst_unused:UNUSED_PAD src0_sel:WORD_1 src1_sel:DWORD
	v_mul_f16_sdwa v5, v36, v32 dst_sel:DWORD dst_unused:UNUSED_PAD src0_sel:WORD_1 src1_sel:DWORD
	v_fma_f16 v1, v36, v32, v1
	v_fma_f16 v0, v36, v0, -v5
	v_pack_b32_f16 v0, v1, v0
	s_waitcnt vmcnt(8)
	v_lshrrev_b32_e32 v1, 16, v34
	v_mul_f16_sdwa v5, v38, v1 dst_sel:DWORD dst_unused:UNUSED_PAD src0_sel:WORD_1 src1_sel:DWORD
	v_mul_f16_sdwa v6, v38, v34 dst_sel:DWORD dst_unused:UNUSED_PAD src0_sel:WORD_1 src1_sel:DWORD
	v_fma_f16 v5, v38, v34, v5
	v_fma_f16 v1, v38, v1, -v6
	v_pack_b32_f16 v1, v5, v1
	ds_write2_b32 v16, v0, v1 offset0:198 offset1:216
	s_waitcnt vmcnt(7)
	v_lshrrev_b32_e32 v0, 16, v4
	s_waitcnt vmcnt(6)
	v_mul_f16_sdwa v1, v35, v0 dst_sel:DWORD dst_unused:UNUSED_PAD src0_sel:WORD_1 src1_sel:DWORD
	v_fma_f16 v1, v35, v4, v1
	v_mul_f16_sdwa v4, v35, v4 dst_sel:DWORD dst_unused:UNUSED_PAD src0_sel:WORD_1 src1_sel:DWORD
	v_fma_f16 v0, v35, v0, -v4
	v_pack_b32_f16 v0, v1, v0
	s_waitcnt vmcnt(5)
	v_lshrrev_b32_e32 v1, 16, v37
	s_waitcnt vmcnt(4)
	v_mul_f16_sdwa v4, v39, v1 dst_sel:DWORD dst_unused:UNUSED_PAD src0_sel:WORD_1 src1_sel:DWORD
	v_mul_f16_sdwa v5, v39, v37 dst_sel:DWORD dst_unused:UNUSED_PAD src0_sel:WORD_1 src1_sel:DWORD
	v_fma_f16 v4, v39, v37, v4
	v_fma_f16 v1, v39, v1, -v5
	v_pack_b32_f16 v1, v4, v1
	ds_write2_b32 v16, v0, v1 offset0:234 offset1:252
	s_waitcnt vmcnt(3)
	v_lshrrev_b32_e32 v0, 16, v40
	s_waitcnt vmcnt(2)
	v_mul_f16_sdwa v1, v41, v0 dst_sel:DWORD dst_unused:UNUSED_PAD src0_sel:WORD_1 src1_sel:DWORD
	v_mul_f16_sdwa v4, v41, v40 dst_sel:DWORD dst_unused:UNUSED_PAD src0_sel:WORD_1 src1_sel:DWORD
	v_fma_f16 v1, v41, v40, v1
	v_fma_f16 v0, v41, v0, -v4
	v_pack_b32_f16 v0, v1, v0
	s_waitcnt vmcnt(1)
	v_lshrrev_b32_e32 v1, 16, v2
	s_waitcnt vmcnt(0)
	v_mul_f16_sdwa v4, v3, v1 dst_sel:DWORD dst_unused:UNUSED_PAD src0_sel:WORD_1 src1_sel:DWORD
	v_fma_f16 v4, v3, v2, v4
	v_mul_f16_sdwa v2, v3, v2 dst_sel:DWORD dst_unused:UNUSED_PAD src0_sel:WORD_1 src1_sel:DWORD
	v_fma_f16 v1, v3, v1, -v2
	v_pack_b32_f16 v1, v4, v1
	v_add_u32_e32 v2, 0x400, v16
	ds_write2_b32 v2, v0, v1 offset0:14 offset1:32
.LBB0_3:
	s_or_b64 exec, exec, s[14:15]
	v_mov_b32_e32 v0, 0
	s_waitcnt lgkmcnt(0)
	s_barrier
	s_waitcnt lgkmcnt(0)
                                        ; implicit-def: $vgpr3
                                        ; implicit-def: $vgpr6
                                        ; implicit-def: $vgpr5
                                        ; implicit-def: $vgpr19
                                        ; implicit-def: $vgpr18
                                        ; implicit-def: $vgpr23
                                        ; implicit-def: $vgpr22
                                        ; implicit-def: $vgpr15
	s_and_saveexec_b64 s[2:3], s[0:1]
	s_cbranch_execz .LBB0_5
; %bb.4:
	v_lshl_add_u32 v9, v30, 2, v27
	ds_read2_b32 v[0:1], v9 offset1:18
	ds_read2_b32 v[21:22], v9 offset0:36 offset1:54
	ds_read2_b32 v[17:18], v9 offset0:72 offset1:90
	;; [unrolled: 1-line block ×6, first 2 shown]
	v_add_u32_e32 v10, 0x200, v9
	ds_read2_b32 v[23:24], v10 offset0:124 offset1:142
	ds_read_b32 v15, v9 offset:1152
.LBB0_5:
	s_or_b64 exec, exec, s[2:3]
	s_waitcnt lgkmcnt(0)
	v_pk_add_f16 v16, v1, v15 neg_lo:[0,1] neg_hi:[0,1]
	s_mov_b32 s11, 0xb5c8
	v_pk_add_f16 v44, v15, v1
	s_movk_i32 s3, 0x3b76
	v_mul_f16_sdwa v31, v16, s11 dst_sel:DWORD dst_unused:UNUSED_PAD src0_sel:WORD_1 src1_sel:DWORD
	s_mov_b32 s16, 0xb964
	v_pk_add_f16 v25, v21, v24 neg_lo:[0,1] neg_hi:[0,1]
	v_fma_f16 v9, v44, s3, v31
	s_movk_i32 s8, 0x39e9
	v_mul_f16_sdwa v39, v16, s16 dst_sel:DWORD dst_unused:UNUSED_PAD src0_sel:WORD_1 src1_sel:DWORD
	s_mov_b32 s17, 0xbb29
	s_mov_b32 s15, 0xbbf7
	v_pk_add_f16 v47, v24, v21
	v_mul_f16_sdwa v40, v25, s16 dst_sel:DWORD dst_unused:UNUSED_PAD src0_sel:WORD_1 src1_sel:DWORD
	v_pk_add_f16 v29, v22, v23 neg_lo:[0,1] neg_hi:[0,1]
	v_fma_f16 v10, v44, s8, v39
	s_movk_i32 s9, 0x3722
	s_movk_i32 s2, 0x2de8
	s_mov_b32 s14, 0xba62
	v_fma_f16 v11, v47, s8, v40
	v_mul_f16_sdwa v41, v25, s15 dst_sel:DWORD dst_unused:UNUSED_PAD src0_sel:WORD_1 src1_sel:DWORD
	v_pk_add_f16 v50, v23, v22
	v_add_f16_e32 v9, v9, v0
	v_mul_f16_sdwa v42, v29, s17 dst_sel:DWORD dst_unused:UNUSED_PAD src0_sel:WORD_1 src1_sel:DWORD
	s_mov_b32 s10, 0xb8d2
	v_fma_f16 v12, v47, s2, v41
	v_add_f16_e32 v9, v11, v9
	v_add_f16_e32 v10, v10, v0
	v_fma_f16 v11, v50, s9, v42
	v_mul_f16_sdwa v46, v29, s14 dst_sel:DWORD dst_unused:UNUSED_PAD src0_sel:WORD_1 src1_sel:DWORD
	v_pk_add_f16 v32, v17, v20 neg_lo:[0,1] neg_hi:[0,1]
	v_add_f16_e32 v10, v12, v10
	v_add_f16_e32 v9, v11, v9
	v_fma_f16 v11, v50, s10, v46
	v_pk_add_f16 v76, v20, v17
	v_mul_f16_sdwa v43, v32, s15 dst_sel:DWORD dst_unused:UNUSED_PAD src0_sel:WORD_1 src1_sel:DWORD
	s_mov_b32 s22, 0xb1e1
	v_add_f16_e32 v10, v11, v10
	v_fma_f16 v11, v76, s2, v43
	s_mov_b32 s20, 0xbbdd
	v_mul_f16_sdwa v49, v32, s22 dst_sel:DWORD dst_unused:UNUSED_PAD src0_sel:WORD_1 src1_sel:DWORD
	s_mov_b32 s19, 0xbbb2
	v_pk_add_f16 v33, v18, v19 neg_lo:[0,1] neg_hi:[0,1]
	v_add_f16_e32 v9, v11, v9
	v_fma_f16 v11, v76, s20, v49
	s_mov_b32 s18, 0xb461
	v_pk_add_f16 v79, v19, v18
	v_mul_f16_sdwa v45, v33, s19 dst_sel:DWORD dst_unused:UNUSED_PAD src0_sel:WORD_1 src1_sel:DWORD
	s_movk_i32 s26, 0x3836
	v_add_f16_e32 v10, v11, v10
	v_fma_f16 v11, v79, s18, v45
	s_mov_b32 s21, 0xbacd
	v_mul_f16_sdwa v52, v33, s26 dst_sel:DWORD dst_unused:UNUSED_PAD src0_sel:WORD_1 src1_sel:DWORD
	v_pk_add_f16 v34, v4, v7 neg_lo:[0,1] neg_hi:[0,1]
	v_add_f16_e32 v9, v11, v9
	v_fma_f16 v11, v79, s21, v52
	v_pk_add_f16 v81, v7, v4
	v_mul_f16_sdwa v48, v34, s14 dst_sel:DWORD dst_unused:UNUSED_PAD src0_sel:WORD_1 src1_sel:DWORD
	s_movk_i32 s27, 0x3bb2
	v_add_f16_e32 v10, v11, v10
	v_fma_f16 v11, v81, s10, v48
	v_mul_f16_sdwa v54, v34, s27 dst_sel:DWORD dst_unused:UNUSED_PAD src0_sel:WORD_1 src1_sel:DWORD
	s_mov_b32 s25, 0xb836
	v_pk_add_f16 v35, v5, v6 neg_lo:[0,1] neg_hi:[0,1]
	v_add_f16_e32 v9, v11, v9
	v_fma_f16 v11, v81, s18, v54
	v_pk_add_f16 v85, v6, v5
	v_mul_f16_sdwa v51, v35, s25 dst_sel:DWORD dst_unused:UNUSED_PAD src0_sel:WORD_1 src1_sel:DWORD
	s_movk_i32 s23, 0x3b29
	v_add_f16_e32 v10, v11, v10
	v_fma_f16 v11, v85, s21, v51
	v_mul_f16_sdwa v55, v35, s23 dst_sel:DWORD dst_unused:UNUSED_PAD src0_sel:WORD_1 src1_sel:DWORD
	v_pk_add_f16 v166, v2, v3 neg_lo:[0,1] neg_hi:[0,1]
	v_add_f16_e32 v9, v11, v9
	v_fma_f16 v11, v85, s9, v55
	s_movk_i32 s28, 0x35c8
	v_pk_add_f16 v82, v3, v2
	v_mul_f16_sdwa v53, v166, s22 dst_sel:DWORD dst_unused:UNUSED_PAD src0_sel:WORD_1 src1_sel:DWORD
	v_add_f16_e32 v11, v11, v10
	v_fma_f16 v10, v82, s20, v53
	v_mul_f16_sdwa v56, v166, s28 dst_sel:DWORD dst_unused:UNUSED_PAD src0_sel:WORD_1 src1_sel:DWORD
	v_add_f16_e32 v10, v10, v9
	v_fma_f16 v9, v82, s3, v56
	;; [unrolled: 3-line block ×5, first 2 shown]
	v_mul_f16_sdwa v67, v25, s22 dst_sel:DWORD dst_unused:UNUSED_PAD src0_sel:WORD_1 src1_sel:DWORD
	s_movk_i32 s24, 0x31e1
	v_add_f16_e32 v12, v12, v0
	v_fma_f16 v13, v47, s20, v67
	v_mul_f16_sdwa v59, v29, s24 dst_sel:DWORD dst_unused:UNUSED_PAD src0_sel:WORD_1 src1_sel:DWORD
	v_add_f16_e32 v12, v13, v12
	v_fma_f16 v13, v50, s20, v59
	v_mul_f16_sdwa v68, v29, s27 dst_sel:DWORD dst_unused:UNUSED_PAD src0_sel:WORD_1 src1_sel:DWORD
	;; [unrolled: 3-line block ×4, first 2 shown]
	s_movk_i32 s24, 0x3964
	v_add_f16_e32 v11, v13, v11
	v_fma_f16 v13, v76, s3, v69
	v_mul_f16_sdwa v61, v33, s24 dst_sel:DWORD dst_unused:UNUSED_PAD src0_sel:WORD_1 src1_sel:DWORD
	v_add_f16_e32 v12, v13, v12
	v_fma_f16 v13, v79, s8, v61
	v_mul_f16_sdwa v70, v33, s17 dst_sel:DWORD dst_unused:UNUSED_PAD src0_sel:WORD_1 src1_sel:DWORD
	;; [unrolled: 3-line block ×5, first 2 shown]
	s_movk_i32 s29, 0x3a62
	v_add_f16_e32 v12, v13, v12
	v_fma_f16 v13, v85, s2, v64
	v_mul_f16_sdwa v74, v35, s29 dst_sel:DWORD dst_unused:UNUSED_PAD src0_sel:WORD_1 src1_sel:DWORD
	v_add_f16_e32 v11, v13, v11
	v_fma_f16 v13, v85, s10, v74
	v_mul_f16_sdwa v65, v166, s25 dst_sel:DWORD dst_unused:UNUSED_PAD src0_sel:WORD_1 src1_sel:DWORD
	;; [unrolled: 3-line block ×12, first 2 shown]
	s_movk_i32 s17, 0x3bf7
	v_add_f16_e32 v14, v36, v14
	v_fma_f16 v36, v79, s20, v88
	v_mul_f16_sdwa v101, v33, s17 dst_sel:DWORD dst_unused:UNUSED_PAD src0_sel:WORD_1 src1_sel:DWORD
	v_add_f16_e32 v13, v36, v13
	v_fma_f16 v36, v79, s2, v101
	v_mul_f16_sdwa v92, v34, s17 dst_sel:DWORD dst_unused:UNUSED_PAD src0_sel:WORD_1 src1_sel:DWORD
	;; [unrolled: 3-line block ×7, first 2 shown]
	v_add_f16_e32 v14, v14, v13
	v_fma_f16 v13, v82, s9, v108
	v_lshrrev_b32_e32 v149, 16, v44
	v_mul_f16_e32 v71, 0xb5c8, v16
	v_add_f16_e32 v13, v13, v36
	v_fma_f16 v36, v149, s3, -v71
	v_lshrrev_b32_e32 v145, 16, v47
	v_mul_f16_e32 v73, 0xb964, v25
	v_add_f16_sdwa v36, v36, v0 dst_sel:DWORD dst_unused:UNUSED_PAD src0_sel:DWORD src1_sel:WORD_1
	v_fma_f16 v37, v145, s8, -v73
	v_mul_f16_e32 v77, 0xb964, v16
	v_add_f16_e32 v36, v37, v36
	v_fma_f16 v37, v149, s8, -v77
	v_mul_f16_e32 v78, 0xbbf7, v25
	v_add_f16_sdwa v37, v37, v0 dst_sel:DWORD dst_unused:UNUSED_PAD src0_sel:DWORD src1_sel:WORD_1
	v_fma_f16 v38, v145, s2, -v78
	v_mul_f16_e32 v89, 0xbb29, v16
	v_add_f16_e32 v37, v38, v37
	v_fma_f16 v38, v149, s9, -v89
	;; [unrolled: 6-line block ×5, first 2 shown]
	v_mul_f16_e32 v122, 0x3bb2, v25
	v_add_f16_sdwa v80, v80, v0 dst_sel:DWORD dst_unused:UNUSED_PAD src0_sel:DWORD src1_sel:WORD_1
	v_fma_f16 v94, v145, s18, -v122
	v_mul_f16_sdwa v126, v16, s25 dst_sel:DWORD dst_unused:UNUSED_PAD src0_sel:WORD_1 src1_sel:DWORD
	v_add_f16_e32 v99, v94, v80
	v_fma_f16 v80, v44, s21, v126
	v_mul_f16_sdwa v127, v25, s23 dst_sel:DWORD dst_unused:UNUSED_PAD src0_sel:WORD_1 src1_sel:DWORD
	v_add_f16_e32 v80, v80, v0
	v_fma_f16 v94, v47, s9, v127
	v_mul_f16_e32 v135, 0xb836, v16
	v_add_f16_e32 v102, v94, v80
	v_fma_f16 v80, v149, s21, -v135
	v_mul_f16_e32 v136, 0x3b29, v25
	v_add_f16_sdwa v80, v80, v0 dst_sel:DWORD dst_unused:UNUSED_PAD src0_sel:DWORD src1_sel:WORD_1
	v_fma_f16 v94, v145, s9, -v136
	v_pk_mul_f16 v16, v16, s22 op_sel_hi:[1,0]
	v_add_f16_e32 v109, v94, v80
	v_pk_fma_f16 v80, v44, s20, v16 op_sel:[0,0,1] op_sel_hi:[1,0,0] neg_lo:[0,0,1] neg_hi:[0,0,1]
	v_pk_mul_f16 v25, v25, s28 op_sel_hi:[1,0]
	v_pk_add_f16 v80, v80, v0
	v_pk_fma_f16 v94, v47, s3, v25 op_sel:[0,0,1] op_sel_hi:[1,0,0] neg_lo:[0,0,1] neg_hi:[0,0,1]
	v_pk_add_f16 v110, v94, v80
	v_lshrrev_b32_e32 v154, 16, v50
	v_mul_f16_e32 v80, 0xbb29, v29
	v_fma_f16 v94, v154, s9, -v80
	v_add_f16_e32 v36, v94, v36
	v_mul_f16_e32 v94, 0xba62, v29
	v_fma_f16 v107, v154, s10, -v94
	v_add_f16_e32 v37, v107, v37
	v_mul_f16_e32 v107, 0x31e1, v29
	v_fma_f16 v111, v154, s20, -v107
	v_mul_f16_e32 v115, 0x3bb2, v29
	v_add_f16_e32 v38, v111, v38
	v_fma_f16 v111, v154, s18, -v115
	v_mul_f16_e32 v123, 0x3964, v29
	v_add_f16_e32 v62, v111, v62
	;; [unrolled: 3-line block ×3, first 2 shown]
	v_fma_f16 v91, v154, s3, -v131
	v_mul_f16_sdwa v134, v29, s15 dst_sel:DWORD dst_unused:UNUSED_PAD src0_sel:WORD_1 src1_sel:DWORD
	v_add_f16_e32 v99, v91, v99
	v_fma_f16 v91, v50, s2, v134
	v_mul_f16_e32 v142, 0xbbf7, v29
	v_add_f16_e32 v116, v91, v102
	v_fma_f16 v91, v154, s2, -v142
	v_pk_mul_f16 v29, v29, s25 op_sel_hi:[1,0]
	v_add_f16_e32 v109, v91, v109
	v_pk_fma_f16 v91, v50, s21, v29 op_sel:[0,0,1] op_sel_hi:[1,0,0] neg_lo:[0,0,1] neg_hi:[0,0,1]
	v_pk_add_f16 v110, v91, v110
	v_lshrrev_b32_e32 v157, 16, v76
	v_mul_f16_e32 v91, 0xbbf7, v32
	v_fma_f16 v102, v157, s2, -v91
	v_add_f16_e32 v36, v102, v36
	v_mul_f16_e32 v102, 0xb1e1, v32
	v_fma_f16 v111, v157, s20, -v102
	v_add_f16_e32 v37, v111, v37
	v_mul_f16_e32 v111, 0x3bb2, v32
	v_fma_f16 v117, v157, s18, -v111
	v_mul_f16_e32 v119, 0x35c8, v32
	v_add_f16_e32 v38, v117, v38
	v_fma_f16 v117, v157, s3, -v119
	v_mul_f16_e32 v129, 0xbb29, v32
	v_add_f16_e32 v62, v117, v62
	;; [unrolled: 3-line block ×3, first 2 shown]
	v_fma_f16 v117, v157, s21, -v138
	v_mul_f16_sdwa v141, v32, s29 dst_sel:DWORD dst_unused:UNUSED_PAD src0_sel:WORD_1 src1_sel:DWORD
	v_add_f16_e32 v118, v117, v99
	v_fma_f16 v99, v76, s10, v141
	v_mul_f16_e32 v147, 0x3a62, v32
	v_add_f16_e32 v116, v99, v116
	v_fma_f16 v99, v157, s10, -v147
	v_pk_mul_f16 v167, v32, s24 op_sel_hi:[1,0]
	v_add_f16_e32 v109, v99, v109
	v_pk_fma_f16 v32, v76, s8, v167 op_sel:[0,0,1] op_sel_hi:[1,0,0] neg_lo:[0,0,1] neg_hi:[0,0,1]
	v_lshrrev_b32_e32 v160, 16, v79
	v_mul_f16_e32 v99, 0xbbb2, v33
	v_pk_add_f16 v32, v32, v110
	v_fma_f16 v110, v160, s18, -v99
	v_add_f16_e32 v36, v110, v36
	v_mul_f16_e32 v110, 0x3836, v33
	v_fma_f16 v117, v160, s21, -v110
	v_add_f16_e32 v37, v117, v37
	v_mul_f16_e32 v117, 0x3964, v33
	v_fma_f16 v121, v160, s8, -v117
	v_mul_f16_e32 v125, 0xbb29, v33
	v_add_f16_e32 v38, v121, v38
	v_fma_f16 v121, v160, s9, -v125
	v_mul_f16_e32 v133, 0xb1e1, v33
	v_add_f16_e32 v62, v121, v62
	;; [unrolled: 3-line block ×3, first 2 shown]
	v_fma_f16 v121, v160, s2, -v143
	v_mul_f16_sdwa v148, v33, s11 dst_sel:DWORD dst_unused:UNUSED_PAD src0_sel:WORD_1 src1_sel:DWORD
	v_add_f16_e32 v118, v121, v118
	v_fma_f16 v121, v79, s3, v148
	v_mul_f16_e32 v151, 0xb5c8, v33
	v_add_f16_e32 v121, v121, v116
	v_fma_f16 v116, v160, s3, -v151
	v_pk_mul_f16 v168, v33, s14 op_sel_hi:[1,0]
	v_add_f16_e32 v128, v116, v109
	v_pk_fma_f16 v33, v79, s10, v168 op_sel:[0,0,1] op_sel_hi:[1,0,0] neg_lo:[0,0,1] neg_hi:[0,0,1]
	v_lshrrev_b32_e32 v162, 16, v81
	v_mul_f16_e32 v109, 0xba62, v34
	v_pk_add_f16 v32, v33, v32
	v_fma_f16 v33, v162, s10, -v109
	v_mul_f16_e32 v116, 0x3bb2, v34
	v_add_f16_e32 v33, v33, v36
	v_fma_f16 v36, v162, s18, -v116
	v_mul_f16_e32 v124, 0xb5c8, v34
	v_add_f16_e32 v36, v36, v37
	v_fma_f16 v37, v162, s3, -v124
	v_mul_f16_e32 v132, 0xb836, v34
	v_add_f16_e32 v37, v37, v38
	v_fma_f16 v38, v162, s21, -v132
	v_mul_f16_e32 v140, 0x3bf7, v34
	v_add_f16_e32 v38, v38, v62
	v_fma_f16 v62, v162, s2, -v140
	v_mul_f16_e32 v150, 0xb964, v34
	v_add_f16_e32 v62, v62, v114
	v_fma_f16 v114, v162, s8, -v150
	v_mul_f16_sdwa v153, v34, s22 dst_sel:DWORD dst_unused:UNUSED_PAD src0_sel:WORD_1 src1_sel:DWORD
	v_add_f16_e32 v118, v114, v118
	v_fma_f16 v114, v81, s20, v153
	v_mul_f16_e32 v156, 0xb1e1, v34
	v_add_f16_e32 v137, v114, v121
	v_fma_f16 v114, v162, s20, -v156
	v_pk_mul_f16 v169, v34, s23 op_sel_hi:[1,0]
	v_add_f16_e32 v128, v114, v128
	v_pk_fma_f16 v34, v81, s9, v169 op_sel:[0,0,1] op_sel_hi:[1,0,0] neg_lo:[0,0,1] neg_hi:[0,0,1]
	v_lshrrev_b32_e32 v164, 16, v85
	v_mul_f16_e32 v114, 0xb836, v35
	v_pk_add_f16 v32, v34, v32
	v_fma_f16 v34, v164, s21, -v114
	v_mul_f16_e32 v121, 0x3b29, v35
	v_add_f16_e32 v33, v34, v33
	v_fma_f16 v34, v164, s9, -v121
	v_mul_f16_e32 v130, 0xbbf7, v35
	v_add_f16_e32 v34, v34, v36
	;; [unrolled: 3-line block ×5, first 2 shown]
	v_fma_f16 v62, v164, s20, -v155
	v_mul_f16_sdwa v158, v35, s24 dst_sel:DWORD dst_unused:UNUSED_PAD src0_sel:WORD_1 src1_sel:DWORD
	v_add_f16_e32 v62, v62, v118
	v_fma_f16 v118, v85, s8, v158
	v_mul_f16_e32 v161, 0x3964, v35
	v_add_f16_e32 v170, v118, v137
	v_fma_f16 v118, v164, s8, -v161
	v_pk_mul_f16 v172, v35, s19 op_sel_hi:[1,0]
	v_add_f16_e32 v171, v118, v128
	v_pk_fma_f16 v35, v85, s18, v172 op_sel:[0,0,1] op_sel_hi:[1,0,0] neg_lo:[0,0,1] neg_hi:[0,0,1]
	v_lshrrev_b32_e32 v163, 16, v82
	v_mul_f16_e32 v118, 0xb1e1, v166
	v_pk_add_f16 v173, v35, v32
	v_fma_f16 v32, v163, s20, -v118
	v_mul_f16_e32 v128, 0x35c8, v166
	v_pk_fma_f16 v16, v44, s20, v16 op_sel:[0,0,1] op_sel_hi:[1,0,0]
	v_add_f16_e32 v32, v32, v33
	v_fma_f16 v33, v163, s3, -v128
	v_mul_f16_e32 v137, 0xb836, v166
	v_pk_add_f16 v16, v16, v0
	v_pk_fma_f16 v25, v47, s3, v25 op_sel:[0,0,1] op_sel_hi:[1,0,0]
	v_add_f16_e32 v34, v33, v34
	v_fma_f16 v33, v163, s21, -v137
	v_mul_f16_e32 v144, 0x3964, v166
	v_pk_add_f16 v16, v25, v16
	;; [unrolled: 5-line block ×4, first 2 shown]
	v_pk_fma_f16 v25, v79, s10, v168 op_sel:[0,0,1] op_sel_hi:[1,0,0]
	v_add_f16_e32 v37, v33, v38
	v_fma_f16 v33, v163, s9, -v159
	v_pk_add_f16 v16, v25, v16
	v_pk_fma_f16 v25, v81, s9, v169 op_sel:[0,0,1] op_sel_hi:[1,0,0]
	s_load_dwordx2 s[8:9], s[4:5], 0x20
	s_nop 0
	s_load_dwordx2 s[4:5], s[4:5], 0x8
	v_pk_add_f16 v16, v25, v16
	v_pk_fma_f16 v25, v85, s18, v172 op_sel:[0,0,1] op_sel_hi:[1,0,0]
	v_pk_mul_f16 v29, v166, s17 op_sel_hi:[1,0]
	v_mul_f16_e32 v165, 0xbbb2, v166
	v_pk_add_f16 v25, v25, v16
	v_pk_fma_f16 v16, v82, s2, v29 op_sel:[0,0,1] op_sel_hi:[1,0,0] neg_lo:[0,0,1] neg_hi:[0,0,1]
	v_mul_f16_sdwa v166, v166, s19 dst_sel:DWORD dst_unused:UNUSED_PAD src0_sel:WORD_1 src1_sel:DWORD
	v_add_f16_e32 v38, v33, v62
	v_fma_f16 v33, v163, s18, -v165
	v_pk_add_f16 v62, v16, v173
	v_fma_f16 v16, v82, s18, v166
	v_pk_fma_f16 v29, v82, s2, v29 op_sel:[0,0,1] op_sel_hi:[1,0,0]
	v_add_f16_e32 v33, v33, v171
	v_add_f16_e32 v16, v16, v170
	v_pk_add_f16 v25, v29, v25
	v_mul_lo_u16_e32 v29, 17, v26
	s_waitcnt lgkmcnt(0)
	s_barrier
	s_and_saveexec_b64 s[2:3], s[0:1]
	s_cbranch_execz .LBB0_7
; %bb.6:
	v_mul_f16_e32 v167, 0x3b76, v44
	v_mul_f16_e32 v169, 0x39e9, v44
	;; [unrolled: 1-line block ×14, first 2 shown]
	v_sub_f16_e32 v44, v44, v126
	v_mul_f16_e32 v191, 0x3722, v50
	v_mul_f16_e32 v193, 0xb8d2, v50
	v_mul_f16_e32 v195, 0xbbdd, v50
	v_mul_f16_e32 v197, 0xb461, v50
	v_mul_f16_e32 v199, 0x39e9, v50
	v_mul_f16_e32 v201, 0x3b76, v50
	v_mul_f16_e32 v50, 0x2de8, v50
	v_add_f16_e32 v44, v44, v0
	v_sub_f16_e32 v47, v47, v127
	v_mul_f16_e32 v203, 0x2de8, v76
	v_mul_f16_e32 v205, 0xbbdd, v76
	v_mul_f16_e32 v207, 0xb461, v76
	v_mul_f16_e32 v209, 0x3b76, v76
	v_mul_f16_e32 v211, 0x3722, v76
	v_mul_f16_e32 v213, 0xbacd, v76
	v_mul_f16_e32 v76, 0xb8d2, v76
	v_add_f16_e32 v44, v47, v44
	;; [unrolled: 9-line block ×4, first 2 shown]
	v_sub_f16_e32 v47, v79, v148
	v_mul_f16_e32 v180, 0x39e9, v145
	v_mul_f16_e32 v182, 0x2de8, v145
	;; [unrolled: 1-line block ×35, first 2 shown]
	v_add_f16_e32 v44, v47, v44
	v_sub_f16_e32 v47, v81, v153
	v_mul_f16_e32 v251, 0xbbdd, v82
	v_mul_f16_e32 v253, 0x3b76, v82
	v_add_f16_e32 v136, v136, v145
	v_mul_f16_e32 v145, 0xbacd, v82
	v_add_f16_e32 v142, v142, v154
	v_mul_f16_e32 v154, 0x39e9, v82
	v_add_f16_e32 v147, v147, v157
	v_mul_f16_e32 v157, 0xb8d2, v82
	v_add_f16_e32 v151, v151, v160
	v_mul_f16_e32 v160, 0x3722, v82
	v_mul_f16_e32 v82, 0xb461, v82
	v_add_f16_e32 v44, v47, v44
	v_sub_f16_e32 v47, v85, v158
	v_mul_f16_e32 v178, 0xb8d2, v149
	v_add_f16_e32 v44, v47, v44
	v_sub_f16_e32 v47, v82, v166
	v_mul_f16_e32 v168, 0x3b76, v149
	v_mul_f16_e32 v170, 0x39e9, v149
	;; [unrolled: 1-line block ×6, first 2 shown]
	v_add_f16_e32 v44, v47, v44
	v_add_f16_e32 v47, v120, v178
	;; [unrolled: 1-line block ×3, first 2 shown]
	v_add_f16_sdwa v47, v47, v0 dst_sel:DWORD dst_unused:UNUSED_PAD src0_sel:DWORD src1_sel:WORD_1
	v_add_f16_e32 v50, v122, v190
	v_add_f16_sdwa v135, v135, v0 dst_sel:DWORD dst_unused:UNUSED_PAD src0_sel:DWORD src1_sel:WORD_1
	v_add_f16_e32 v47, v50, v47
	v_add_f16_e32 v50, v131, v202
	;; [unrolled: 1-line block ×5, first 2 shown]
	v_mul_f16_e32 v238, 0x39e9, v162
	v_add_f16_e32 v135, v142, v135
	v_add_f16_e32 v47, v50, v47
	;; [unrolled: 1-line block ×3, first 2 shown]
	v_mul_f16_e32 v250, 0xbbdd, v164
	v_add_f16_e32 v135, v147, v135
	v_add_f16_e32 v47, v50, v47
	;; [unrolled: 1-line block ×4, first 2 shown]
	v_mul_f16_e32 v151, 0x3722, v163
	v_add_f16_e32 v47, v50, v47
	v_add_f16_e32 v50, v155, v250
	;; [unrolled: 1-line block ×5, first 2 shown]
	v_sub_f16_e32 v50, v177, v96
	v_add_f16_e32 v50, v50, v0
	v_sub_f16_e32 v76, v189, v97
	v_add_f16_e32 v50, v76, v50
	;; [unrolled: 2-line block ×8, first 2 shown]
	v_add_f16_e32 v76, v112, v176
	v_add_f16_sdwa v76, v76, v0 dst_sel:DWORD dst_unused:UNUSED_PAD src0_sel:DWORD src1_sel:WORD_1
	v_add_f16_e32 v79, v113, v188
	v_add_f16_e32 v76, v79, v76
	;; [unrolled: 1-line block ×5, first 2 shown]
	v_mul_f16_e32 v236, 0x2de8, v162
	v_add_f16_e32 v76, v79, v76
	v_add_f16_e32 v79, v133, v224
	v_mul_f16_e32 v248, 0x3b76, v164
	v_add_f16_e32 v76, v79, v76
	v_add_f16_e32 v79, v140, v236
	;; [unrolled: 3-line block ×3, first 2 shown]
	v_add_f16_e32 v76, v79, v76
	v_add_f16_e32 v79, v152, v147
	;; [unrolled: 1-line block ×3, first 2 shown]
	v_sub_f16_e32 v79, v175, v83
	v_sub_f16_e32 v66, v173, v66
	;; [unrolled: 1-line block ×4, first 2 shown]
	v_add_f16_e32 v79, v79, v0
	v_sub_f16_e32 v81, v187, v84
	v_add_f16_e32 v66, v66, v0
	v_sub_f16_e32 v67, v185, v67
	;; [unrolled: 2-line block ×28, first 2 shown]
	v_add_f16_e32 v79, v81, v79
	v_add_f16_e32 v81, v103, v174
	;; [unrolled: 1-line block ×8, first 2 shown]
	v_sub_f16_e32 v31, v167, v31
	v_add_f16_sdwa v81, v81, v0 dst_sel:DWORD dst_unused:UNUSED_PAD src0_sel:DWORD src1_sel:WORD_1
	v_add_f16_sdwa v67, v67, v0 dst_sel:DWORD dst_unused:UNUSED_PAD src0_sel:DWORD src1_sel:WORD_1
	;; [unrolled: 1-line block ×4, first 2 shown]
	v_add_f16_e32 v31, v31, v0
	v_pk_add_f16 v0, v1, v0
	v_pk_add_f16 v0, v21, v0
	;; [unrolled: 1-line block ×7, first 2 shown]
	v_add_f16_e32 v46, v73, v180
	v_sub_f16_e32 v40, v179, v40
	v_pk_add_f16 v0, v2, v0
	v_add_f16_e32 v68, v90, v184
	v_add_f16_e32 v59, v78, v182
	;; [unrolled: 1-line block ×5, first 2 shown]
	v_sub_f16_e32 v40, v191, v42
	v_pk_add_f16 v0, v3, v0
	v_add_f16_e32 v82, v104, v186
	v_add_f16_e32 v67, v68, v67
	v_add_f16_e32 v68, v107, v196
	v_add_f16_e32 v58, v59, v58
	v_add_f16_e32 v59, v94, v194
	v_add_f16_e32 v41, v46, v41
	v_add_f16_e32 v46, v91, v204
	v_add_f16_e32 v31, v40, v31
	v_sub_f16_e32 v40, v203, v43
	v_pk_add_f16 v0, v6, v0
	v_mul_f16_e32 v228, 0xb8d2, v162
	v_add_f16_e32 v81, v82, v81
	v_add_f16_e32 v82, v115, v198
	v_add_f16_e32 v67, v68, v67
	v_add_f16_e32 v68, v111, v208
	v_add_f16_e32 v58, v59, v58
	v_add_f16_e32 v59, v102, v206
	v_add_f16_e32 v41, v46, v41
	v_add_f16_e32 v46, v99, v216
	v_add_f16_e32 v31, v40, v31
	v_sub_f16_e32 v40, v215, v45
	v_pk_add_f16 v0, v7, v0
	v_mul_f16_e32 v230, 0xb461, v162
	v_mul_f16_e32 v232, 0x3b76, v162
	v_mul_f16_e32 v240, 0xbacd, v164
	v_add_f16_e32 v81, v82, v81
	v_add_f16_e32 v82, v119, v210
	v_add_f16_e32 v67, v68, v67
	v_add_f16_e32 v68, v117, v220
	v_add_f16_e32 v58, v59, v58
	v_add_f16_e32 v59, v110, v218
	v_add_f16_e32 v41, v46, v41
	v_add_f16_e32 v46, v109, v228
	v_add_f16_e32 v31, v40, v31
	v_sub_f16_e32 v40, v227, v48
	v_pk_add_f16 v0, v19, v0
	v_mul_f16_e32 v234, 0xbacd, v162
	v_mul_f16_e32 v242, 0x3722, v164
	v_mul_f16_e32 v244, 0x2de8, v164
	v_mul_f16_e32 v252, 0xbbdd, v163
	v_add_f16_e32 v81, v82, v81
	v_add_f16_e32 v82, v125, v222
	v_add_f16_e32 v67, v68, v67
	v_add_f16_e32 v68, v124, v232
	v_add_f16_e32 v58, v59, v58
	v_add_f16_e32 v59, v116, v230
	v_add_f16_e32 v41, v46, v41
	v_add_f16_e32 v46, v114, v240
	v_add_f16_e32 v31, v40, v31
	v_sub_f16_e32 v40, v239, v51
	v_pk_add_f16 v0, v20, v0
	v_mul_f16_e32 v162, 0xbbdd, v162
	;; [unrolled: 15-line block ×3, first 2 shown]
	v_mul_f16_e32 v142, 0x39e9, v163
	v_add_f16_e32 v156, v156, v162
	v_add_f16_e32 v81, v82, v81
	;; [unrolled: 1-line block ×9, first 2 shown]
	v_pk_add_f16 v0, v24, v0
	v_mul_f16_e32 v163, 0xb461, v163
	v_add_f16_e32 v135, v156, v135
	v_add_f16_e32 v156, v161, v164
	;; [unrolled: 1-line block ×6, first 2 shown]
	v_add_lshl_u32 v1, v30, v29, 2
	v_pk_add_f16 v0, v15, v0
	v_pack_b32_f16 v2, v31, v41
	v_add_f16_e32 v135, v156, v135
	v_add_f16_e32 v156, v165, v163
	;; [unrolled: 1-line block ×3, first 2 shown]
	ds_write2_b32 v1, v0, v2 offset1:1
	v_pack_b32_f16 v0, v57, v67
	v_pack_b32_f16 v2, v39, v58
	v_add_f16_e32 v135, v156, v135
	ds_write2_b32 v1, v2, v0 offset0:2 offset1:3
	v_pack_b32_f16 v0, v79, v76
	v_pack_b32_f16 v2, v66, v81
	ds_write2_b32 v1, v2, v0 offset0:4 offset1:5
	v_pack_b32_f16 v0, v44, v135
	v_pack_b32_f16 v2, v50, v47
	s_mov_b32 s10, 0xffff
	ds_write2_b32 v1, v2, v0 offset0:6 offset1:7
	v_bfi_b32 v0, s10, v25, v62
	v_bfi_b32 v2, s10, v62, v25
	s_mov_b32 s10, 0x5040100
	ds_write2_b32 v1, v2, v0 offset0:8 offset1:9
	v_perm_b32 v0, v38, v13, s10
	v_perm_b32 v2, v33, v16, s10
	ds_write2_b32 v1, v2, v0 offset0:10 offset1:11
	v_perm_b32 v0, v36, v11, s10
	v_perm_b32 v2, v37, v14, s10
	;; [unrolled: 3-line block ×3, first 2 shown]
	ds_write2_b32 v1, v2, v0 offset0:14 offset1:15
	v_perm_b32 v0, v32, v10, s10
	ds_write_b32 v1, v0 offset:64
.LBB0_7:
	s_or_b64 exec, exec, s[2:3]
	v_add_lshl_u32 v31, v30, v26, 2
	s_waitcnt lgkmcnt(0)
	s_barrier
	ds_read2_b32 v[0:1], v31 offset1:34
	ds_read2_b32 v[4:5], v31 offset0:153 offset1:187
	ds_read2_b32 v[2:3], v31 offset0:68 offset1:102
	;; [unrolled: 1-line block ×3, first 2 shown]
	v_cmp_gt_u16_e64 s[2:3], 17, v26
	v_lshrrev_b32_e32 v17, 16, v25
	s_and_saveexec_b64 s[10:11], s[2:3]
	s_cbranch_execz .LBB0_9
; %bb.8:
	v_add_u32_e32 v15, 0x200, v31
	ds_read2_b32 v[24:25], v15 offset0:8 offset1:161
	s_mov_b32 s14, 0xffff
	s_waitcnt lgkmcnt(0)
	v_lshrrev_b32_e32 v17, 16, v24
	v_bfi_b32 v62, s14, v24, v25
.LBB0_9:
	s_or_b64 exec, exec, s[10:11]
	s_movk_i32 s10, 0xffef
	v_add_co_u32_e32 v15, vcc, s10, v26
	v_addc_co_u32_e64 v18, s[10:11], 0, -1, vcc
	s_movk_i32 s10, 0xf1
	v_add_u16_e32 v24, 0x44, v26
	v_mul_lo_u16_sdwa v39, v24, s10 dst_sel:DWORD dst_unused:UNUSED_PAD src0_sel:BYTE_0 src1_sel:DWORD
	v_lshrrev_b16_e32 v47, 12, v39
	v_cndmask_b32_e64 v20, v18, 0, s[2:3]
	v_cndmask_b32_e64 v19, v15, v26, s[2:3]
	v_mul_lo_u16_e32 v39, 17, v47
	v_lshlrev_b64 v[20:21], 2, v[19:20]
	v_sub_u16_e32 v24, v24, v39
	v_add_u16_e32 v39, 0x66, v26
	v_mul_lo_u16_sdwa v41, v39, s10 dst_sel:DWORD dst_unused:UNUSED_PAD src0_sel:BYTE_0 src1_sel:DWORD
	v_mov_b32_e32 v15, s5
	v_add_co_u32_e32 v20, vcc, s4, v20
	v_lshrrev_b16_e32 v48, 12, v41
	v_addc_co_u32_e32 v21, vcc, v15, v21, vcc
	v_add_u16_e32 v15, 34, v26
	v_mul_lo_u16_e32 v41, 17, v48
	v_mul_lo_u16_sdwa v18, v15, s10 dst_sel:DWORD dst_unused:UNUSED_PAD src0_sel:BYTE_0 src1_sel:DWORD
	v_sub_u16_e32 v50, v39, v41
	v_add_u16_e32 v39, 0x88, v26
	v_lshrrev_b16_e32 v22, 12, v18
	v_mul_lo_u16_sdwa v41, v39, s10 dst_sel:DWORD dst_unused:UNUSED_PAD src0_sel:BYTE_0 src1_sel:DWORD
	v_mul_lo_u16_e32 v18, 17, v22
	v_lshrrev_b16_e32 v41, 12, v41
	v_sub_u16_e32 v23, v15, v18
	v_mov_b32_e32 v15, 2
	global_load_dword v44, v[20:21], off
	v_mul_lo_u16_e32 v20, 17, v41
	v_lshlrev_b32_sdwa v18, v15, v23 dst_sel:DWORD dst_unused:UNUSED_PAD src0_sel:DWORD src1_sel:BYTE_0
	v_lshlrev_b32_sdwa v40, v15, v24 dst_sel:DWORD dst_unused:UNUSED_PAD src0_sel:DWORD src1_sel:BYTE_0
	;; [unrolled: 1-line block ×3, first 2 shown]
	v_sub_u16_e32 v39, v39, v20
	global_load_dword v43, v18, s[4:5]
	global_load_dword v42, v40, s[4:5]
	;; [unrolled: 1-line block ×3, first 2 shown]
	v_and_b32_e32 v18, 0xff, v39
	v_lshlrev_b32_e32 v15, 2, v18
	global_load_dword v40, v15, s[4:5]
	s_waitcnt lgkmcnt(2)
	v_lshrrev_b32_e32 v20, 16, v4
	v_lshrrev_b32_e32 v53, 16, v62
	v_lshrrev_b32_e32 v15, 16, v0
	v_lshrrev_b32_e32 v45, 16, v5
	v_cmp_lt_u16_e32 vcc, 16, v26
	v_lshrrev_b32_e32 v21, 16, v1
	s_waitcnt lgkmcnt(0)
	v_lshrrev_b32_e32 v49, 16, v6
	s_load_dwordx4 s[8:11], s[8:9], 0x0
	v_lshrrev_b32_e32 v46, 16, v2
	s_waitcnt vmcnt(0) lgkmcnt(0)
	s_barrier
	v_lshrrev_b32_e32 v52, 16, v7
	v_lshrrev_b32_e32 v51, 16, v3
	v_mul_f16_sdwa v55, v4, v44 dst_sel:DWORD dst_unused:UNUSED_PAD src0_sel:DWORD src1_sel:WORD_1
	v_mul_f16_sdwa v54, v20, v44 dst_sel:DWORD dst_unused:UNUSED_PAD src0_sel:DWORD src1_sel:WORD_1
	v_fma_f16 v20, v20, v44, v55
	v_fma_f16 v4, v4, v44, -v54
	v_sub_f16_e32 v20, v15, v20
	v_sub_f16_e32 v4, v0, v4
	v_mul_f16_sdwa v56, v45, v43 dst_sel:DWORD dst_unused:UNUSED_PAD src0_sel:DWORD src1_sel:WORD_1
	v_mul_f16_sdwa v57, v5, v43 dst_sel:DWORD dst_unused:UNUSED_PAD src0_sel:DWORD src1_sel:WORD_1
	v_fma_f16 v5, v5, v43, -v56
	v_fma_f16 v56, v15, 2.0, -v20
	v_fma_f16 v45, v45, v43, v57
	v_mul_f16_sdwa v63, v53, v40 dst_sel:DWORD dst_unused:UNUSED_PAD src0_sel:DWORD src1_sel:WORD_1
	v_mul_f16_sdwa v64, v25, v40 dst_sel:DWORD dst_unused:UNUSED_PAD src0_sel:DWORD src1_sel:WORD_1
	v_fma_f16 v25, v25, v40, -v63
	v_sub_f16_e32 v15, v62, v25
	v_cndmask_b32_e64 v25, 0, 34, vcc
	v_fma_f16 v0, v0, 2.0, -v4
	v_add_u32_e32 v19, v19, v25
	v_mul_f16_sdwa v59, v6, v42 dst_sel:DWORD dst_unused:UNUSED_PAD src0_sel:DWORD src1_sel:WORD_1
	v_sub_f16_e32 v54, v21, v45
	v_add_lshl_u32 v45, v30, v19, 2
	v_pack_b32_f16 v0, v0, v56
	v_pack_b32_f16 v4, v4, v20
	v_mul_f16_sdwa v58, v49, v42 dst_sel:DWORD dst_unused:UNUSED_PAD src0_sel:DWORD src1_sel:WORD_1
	v_fma_f16 v49, v49, v42, v59
	v_sub_f16_e32 v5, v1, v5
	ds_write2_b32 v45, v0, v4 offset1:17
	v_mad_legacy_u16 v0, v22, 34, v23
	v_sub_f16_e32 v55, v46, v49
	v_fma_f16 v1, v1, 2.0, -v5
	v_fma_f16 v21, v21, 2.0, -v54
	v_and_b32_e32 v0, 0xff, v0
	v_fma_f16 v6, v6, v42, -v58
	v_fma_f16 v57, v46, 2.0, -v55
	v_add_lshl_u32 v46, v30, v0, 2
	v_pack_b32_f16 v0, v1, v21
	v_pack_b32_f16 v1, v5, v54
	v_sub_f16_e32 v6, v2, v6
	ds_write2_b32 v46, v0, v1 offset1:17
	v_mul_u32_u24_e32 v0, 34, v47
	v_mul_f16_sdwa v60, v52, v41 dst_sel:DWORD dst_unused:UNUSED_PAD src0_sel:DWORD src1_sel:WORD_1
	v_mul_f16_sdwa v61, v7, v41 dst_sel:DWORD dst_unused:UNUSED_PAD src0_sel:DWORD src1_sel:WORD_1
	v_fma_f16 v2, v2, 2.0, -v6
	v_add_u32_sdwa v0, v0, v24 dst_sel:DWORD dst_unused:UNUSED_PAD src0_sel:DWORD src1_sel:BYTE_0
	v_fma_f16 v7, v7, v41, -v60
	v_fma_f16 v52, v52, v41, v61
	v_add_lshl_u32 v47, v30, v0, 2
	v_pack_b32_f16 v0, v2, v57
	v_pack_b32_f16 v1, v6, v55
	v_sub_f16_e32 v7, v3, v7
	v_sub_f16_e32 v52, v51, v52
	ds_write2_b32 v47, v0, v1 offset1:17
	v_mul_u32_u24_e32 v0, 34, v48
	v_fma_f16 v53, v53, v40, v64
	v_fma_f16 v3, v3, 2.0, -v7
	v_fma_f16 v51, v51, 2.0, -v52
	v_add_u32_sdwa v0, v0, v50 dst_sel:DWORD dst_unused:UNUSED_PAD src0_sel:DWORD src1_sel:BYTE_0
	v_sub_f16_e32 v49, v17, v53
	v_add_lshl_u32 v48, v30, v0, 2
	v_pack_b32_f16 v0, v3, v51
	v_pack_b32_f16 v1, v7, v52
	ds_write2_b32 v48, v0, v1 offset1:17
	s_and_saveexec_b64 s[14:15], s[2:3]
	s_cbranch_execz .LBB0_11
; %bb.10:
	v_fma_f16 v0, v62, 2.0, -v15
	v_fma_f16 v1, v17, 2.0, -v49
	v_add_lshl_u32 v2, v30, v18, 2
	s_mov_b32 s16, 0x5040100
	v_pack_b32_f16 v0, v0, v1
	v_perm_b32 v1, v49, v15, s16
	v_add_u32_e32 v2, 0x400, v2
	ds_write2_b32 v2, v0, v1 offset0:16 offset1:33
.LBB0_11:
	s_or_b64 exec, exec, s[14:15]
	v_lshlrev_b32_e32 v17, 5, v26
	s_waitcnt lgkmcnt(0)
	s_barrier
	global_load_dwordx4 v[0:3], v17, s[4:5] offset:68
	global_load_dwordx4 v[4:7], v17, s[4:5] offset:84
	ds_read2_b32 v[22:23], v31 offset1:34
	ds_read2_b32 v[17:18], v31 offset0:68 offset1:102
	ds_read2_b32 v[19:20], v31 offset0:136 offset1:170
	ds_read2_b32 v[24:25], v31 offset0:204 offset1:238
	ds_read_b32 v21, v31 offset:1088
	s_waitcnt lgkmcnt(4)
	v_lshrrev_b32_e32 v30, 16, v23
	s_waitcnt lgkmcnt(3)
	v_lshrrev_b32_e32 v50, 16, v17
	v_lshrrev_b32_e32 v51, 16, v18
	s_waitcnt lgkmcnt(2)
	v_lshrrev_b32_e32 v52, 16, v19
	s_waitcnt lgkmcnt(0)
	v_lshrrev_b32_e32 v56, 16, v21
	v_lshrrev_b32_e32 v54, 16, v24
	;; [unrolled: 1-line block ×4, first 2 shown]
	s_movk_i32 s15, 0x3a21
	s_movk_i32 s4, 0x3be1
	;; [unrolled: 1-line block ×3, first 2 shown]
	v_lshrrev_b32_e32 v57, 16, v22
	s_movk_i32 s5, 0x3aee
	s_movk_i32 s14, 0x3579
	s_mov_b32 s17, 0xbb84
	s_mov_b32 s18, 0xb924
	s_waitcnt vmcnt(1)
	v_mul_f16_sdwa v58, v30, v0 dst_sel:DWORD dst_unused:UNUSED_PAD src0_sel:DWORD src1_sel:WORD_1
	v_mul_f16_sdwa v59, v23, v0 dst_sel:DWORD dst_unused:UNUSED_PAD src0_sel:DWORD src1_sel:WORD_1
	;; [unrolled: 1-line block ×3, first 2 shown]
	s_waitcnt vmcnt(0)
	v_mul_f16_sdwa v72, v56, v7 dst_sel:DWORD dst_unused:UNUSED_PAD src0_sel:DWORD src1_sel:WORD_1
	v_mul_f16_sdwa v73, v21, v7 dst_sel:DWORD dst_unused:UNUSED_PAD src0_sel:DWORD src1_sel:WORD_1
	;; [unrolled: 1-line block ×10, first 2 shown]
	v_fma_f16 v23, v23, v0, -v58
	v_fma_f16 v30, v30, v0, v59
	v_fma_f16 v59, v52, v3, v65
	v_fma_f16 v21, v21, v7, -v72
	v_fma_f16 v52, v56, v7, v73
	v_mul_f16_sdwa v66, v53, v4 dst_sel:DWORD dst_unused:UNUSED_PAD src0_sel:DWORD src1_sel:WORD_1
	v_mul_f16_sdwa v69, v24, v5 dst_sel:DWORD dst_unused:UNUSED_PAD src0_sel:DWORD src1_sel:WORD_1
	v_fma_f16 v17, v17, v1, -v60
	v_fma_f16 v50, v50, v1, v61
	v_fma_f16 v18, v18, v2, -v62
	v_fma_f16 v51, v51, v2, v63
	v_fma_f16 v58, v19, v3, -v64
	v_fma_f16 v19, v24, v5, -v68
	v_fma_f16 v24, v25, v6, -v70
	v_fma_f16 v25, v55, v6, v71
	v_add_f16_e32 v62, v23, v21
	v_add_f16_e32 v63, v30, v52
	v_sub_f16_e32 v23, v23, v21
	v_sub_f16_e32 v30, v30, v52
	v_mul_f16_sdwa v67, v20, v4 dst_sel:DWORD dst_unused:UNUSED_PAD src0_sel:DWORD src1_sel:WORD_1
	v_fma_f16 v60, v20, v4, -v66
	v_fma_f16 v20, v54, v5, v69
	v_add_f16_e32 v64, v17, v24
	v_add_f16_e32 v65, v50, v25
	;; [unrolled: 1-line block ×3, first 2 shown]
	v_sub_f16_e32 v68, v17, v24
	v_sub_f16_e32 v25, v50, v25
	;; [unrolled: 1-line block ×3, first 2 shown]
	v_mul_f16_e32 v17, 0x3924, v23
	v_mul_f16_e32 v18, 0x3924, v30
	v_fma_f16 v19, v62, s15, v22
	v_fma_f16 v61, v53, v4, v67
	v_add_f16_e32 v67, v51, v20
	v_sub_f16_e32 v69, v51, v20
	v_fma_f16 v20, v63, s15, v57
	v_fma_f16 v17, v68, s4, v17
	;; [unrolled: 1-line block ×4, first 2 shown]
	v_sub_f16_e32 v70, v58, v60
	v_sub_f16_e32 v71, v59, v61
	v_add_f16_e32 v72, v58, v60
	v_fma_f16 v20, v65, s16, v20
	v_fma_f16 v17, v50, s5, v17
	;; [unrolled: 1-line block ×3, first 2 shown]
	v_fma_f16 v19, v66, -0.5, v19
	v_add_f16_e32 v73, v59, v61
	v_fma_f16 v20, v67, -0.5, v20
	v_fma_f16 v21, v70, s14, v17
	v_fma_f16 v18, v71, s14, v18
	;; [unrolled: 1-line block ×4, first 2 shown]
	v_add_f16_e32 v17, v18, v17
	v_sub_f16_e32 v51, v19, v21
	v_fma_f16 v20, v18, -2.0, v17
	v_mul_f16_e32 v18, 0xb924, v70
	v_mul_f16_e32 v19, 0xb924, v71
	v_fma_f16 v24, v73, s15, v57
	v_fma_f16 v18, v23, s4, v18
	;; [unrolled: 1-line block ×3, first 2 shown]
	s_mov_b32 s4, 0xbaee
	v_fma_f16 v24, v63, s16, v24
	v_fma_f16 v18, v50, s4, v18
	v_fma_f16 v24, v67, -0.5, v24
	v_fma_f16 v53, v21, 2.0, v51
	v_fma_f16 v21, v68, s14, v18
	v_fma_f16 v24, v65, s17, v24
	v_sub_f16_e32 v52, v24, v21
	v_fma_f16 v19, v69, s4, v19
	v_fma_f16 v54, v21, 2.0, v52
	v_add_f16_e32 v21, v70, v23
	v_add_f16_e32 v24, v71, v30
	v_mul_f16_e32 v70, 0x3be1, v70
	v_mul_f16_e32 v71, 0x3be1, v71
	v_fma_f16 v19, v25, s14, v19
	v_sub_f16_e32 v55, v21, v68
	v_sub_f16_e32 v21, v24, v25
	v_fma_f16 v68, v68, s18, -v70
	v_fma_f16 v25, v25, s18, -v71
	v_add_f16_e32 v76, v64, v62
	v_fma_f16 v50, v50, s5, v68
	v_fma_f16 v25, v69, s5, v25
	v_add_f16_e32 v77, v65, v63
	v_fma_f16 v68, v23, s14, v50
	v_fma_f16 v23, v30, s14, v25
	v_add_f16_e32 v25, v66, v76
	v_add_f16_e32 v30, v67, v77
	v_add_f16_e32 v25, v58, v25
	v_add_f16_e32 v30, v59, v30
	v_add_f16_e32 v25, v60, v25
	v_fma_f16 v18, v72, s15, v22
	v_add_f16_e32 v50, v61, v30
	v_add_f16_e32 v30, v25, v22
	v_fma_f16 v25, v65, s15, v57
	v_fma_f16 v18, v62, s16, v18
	v_add_f16_e32 v74, v66, v22
	v_fma_f16 v22, v64, s15, v22
	v_fma_f16 v25, v73, s16, v25
	v_fma_f16 v18, v66, -0.5, v18
	v_fma_f16 v22, v72, s16, v22
	v_fma_f16 v25, v67, -0.5, v25
	v_fma_f16 v18, v64, s17, v18
	v_add_f16_e32 v75, v67, v57
	v_add_f16_e32 v78, v72, v76
	v_add_f16_e32 v79, v73, v77
	v_add_f16_e32 v50, v50, v57
	v_fma_f16 v22, v66, -0.5, v22
	v_fma_f16 v25, v63, s17, v25
	v_add_f16_e32 v18, v19, v18
	v_fma_f16 v74, v78, -0.5, v74
	v_fma_f16 v75, v79, -0.5, v75
	v_fma_f16 v22, v62, s17, v22
	v_sub_f16_e32 v57, v25, v68
	v_lshl_add_u32 v25, v26, 2, v28
	v_pack_b32_f16 v59, v30, v50
	v_mul_f16_e32 v56, 0x3aee, v55
	v_mul_f16_e32 v24, 0x3aee, v21
	v_fma_f16 v21, v21, s5, v74
	v_fma_f16 v55, v55, s4, v75
	v_add_f16_e32 v22, v23, v22
	ds_write_b32 v25, v59
	v_pack_b32_f16 v59, v17, v51
	v_pack_b32_f16 v60, v18, v52
	v_fma_f16 v24, v24, -2.0, v21
	v_fma_f16 v56, v56, 2.0, v55
	v_fma_f16 v23, v23, -2.0, v22
	v_fma_f16 v58, v68, 2.0, v57
	ds_write2_b32 v25, v59, v60 offset0:34 offset1:68
	v_pack_b32_f16 v59, v21, v55
	v_pack_b32_f16 v60, v22, v57
	v_fma_f16 v19, v19, -2.0, v18
	ds_write2_b32 v25, v59, v60 offset0:102 offset1:136
	v_pack_b32_f16 v59, v23, v58
	v_pack_b32_f16 v60, v24, v56
	ds_write2_b32 v25, v59, v60 offset0:170 offset1:204
	v_pack_b32_f16 v59, v19, v54
	v_pack_b32_f16 v60, v20, v53
	v_add_u32_e32 v61, 0x200, v25
	ds_write2_b32 v61, v59, v60 offset0:110 offset1:144
	s_waitcnt lgkmcnt(0)
	s_barrier
	s_and_saveexec_b64 s[4:5], s[0:1]
	s_cbranch_execz .LBB0_13
; %bb.12:
	global_load_dword v59, v27, s[6:7] offset:1224
	s_add_u32 s14, s6, 0x4c8
	s_addc_u32 s15, s7, 0
	global_load_dword v71, v27, s[14:15] offset:72
	global_load_dword v72, v27, s[14:15] offset:144
	global_load_dword v73, v27, s[14:15] offset:216
	global_load_dword v74, v27, s[14:15] offset:288
	global_load_dword v75, v27, s[14:15] offset:360
	global_load_dword v76, v27, s[14:15] offset:432
	global_load_dword v77, v27, s[14:15] offset:504
	global_load_dword v78, v27, s[14:15] offset:576
	global_load_dword v79, v27, s[14:15] offset:648
	global_load_dword v80, v27, s[14:15] offset:720
	ds_read_b32 v60, v25
	global_load_dword v81, v27, s[14:15] offset:792
	global_load_dword v82, v27, s[14:15] offset:864
	global_load_dword v83, v27, s[14:15] offset:936
	global_load_dword v84, v27, s[14:15] offset:1008
	global_load_dword v85, v27, s[14:15] offset:1080
	global_load_dword v86, v27, s[14:15] offset:1152
	s_waitcnt lgkmcnt(0)
	v_lshrrev_b32_e32 v61, 16, v60
	s_waitcnt vmcnt(16)
	v_mul_f16_sdwa v62, v61, v59 dst_sel:DWORD dst_unused:UNUSED_PAD src0_sel:DWORD src1_sel:WORD_1
	v_mul_f16_sdwa v63, v60, v59 dst_sel:DWORD dst_unused:UNUSED_PAD src0_sel:DWORD src1_sel:WORD_1
	v_fma_f16 v60, v60, v59, -v62
	v_fma_f16 v59, v61, v59, v63
	v_pack_b32_f16 v59, v60, v59
	ds_write_b32 v25, v59
	ds_read2_b32 v[59:60], v25 offset0:18 offset1:36
	ds_read2_b32 v[61:62], v25 offset0:54 offset1:72
	;; [unrolled: 1-line block ×6, first 2 shown]
	s_waitcnt lgkmcnt(5)
	v_lshrrev_b32_e32 v87, 16, v59
	s_waitcnt vmcnt(15)
	v_mul_f16_sdwa v88, v59, v71 dst_sel:DWORD dst_unused:UNUSED_PAD src0_sel:DWORD src1_sel:WORD_1
	v_lshrrev_b32_e32 v89, 16, v60
	s_waitcnt vmcnt(14)
	v_mul_f16_sdwa v90, v60, v72 dst_sel:DWORD dst_unused:UNUSED_PAD src0_sel:DWORD src1_sel:WORD_1
	s_waitcnt lgkmcnt(4)
	v_lshrrev_b32_e32 v91, 16, v61
	s_waitcnt vmcnt(13)
	v_mul_f16_sdwa v92, v61, v73 dst_sel:DWORD dst_unused:UNUSED_PAD src0_sel:DWORD src1_sel:WORD_1
	v_lshrrev_b32_e32 v93, 16, v62
	s_waitcnt vmcnt(12)
	v_mul_f16_sdwa v94, v62, v74 dst_sel:DWORD dst_unused:UNUSED_PAD src0_sel:DWORD src1_sel:WORD_1
	s_waitcnt lgkmcnt(3)
	v_lshrrev_b32_e32 v95, 16, v63
	s_waitcnt vmcnt(11)
	v_mul_f16_sdwa v96, v63, v75 dst_sel:DWORD dst_unused:UNUSED_PAD src0_sel:DWORD src1_sel:WORD_1
	v_lshrrev_b32_e32 v97, 16, v64
	s_waitcnt vmcnt(10)
	v_mul_f16_sdwa v98, v64, v76 dst_sel:DWORD dst_unused:UNUSED_PAD src0_sel:DWORD src1_sel:WORD_1
	s_waitcnt lgkmcnt(2)
	v_lshrrev_b32_e32 v99, 16, v65
	s_waitcnt vmcnt(9)
	v_mul_f16_sdwa v100, v65, v77 dst_sel:DWORD dst_unused:UNUSED_PAD src0_sel:DWORD src1_sel:WORD_1
	v_lshrrev_b32_e32 v101, 16, v66
	v_mul_f16_sdwa v106, v87, v71 dst_sel:DWORD dst_unused:UNUSED_PAD src0_sel:DWORD src1_sel:WORD_1
	v_fma_f16 v87, v87, v71, v88
	v_mul_f16_sdwa v88, v89, v72 dst_sel:DWORD dst_unused:UNUSED_PAD src0_sel:DWORD src1_sel:WORD_1
	s_waitcnt vmcnt(8)
	v_mul_f16_sdwa v102, v66, v78 dst_sel:DWORD dst_unused:UNUSED_PAD src0_sel:DWORD src1_sel:WORD_1
	v_fma_f16 v89, v89, v72, v90
	v_mul_f16_sdwa v90, v91, v73 dst_sel:DWORD dst_unused:UNUSED_PAD src0_sel:DWORD src1_sel:WORD_1
	v_fma_f16 v91, v91, v73, v92
	;; [unrolled: 2-line block ×6, first 2 shown]
	v_mul_f16_sdwa v100, v101, v78 dst_sel:DWORD dst_unused:UNUSED_PAD src0_sel:DWORD src1_sel:WORD_1
	v_fma_f16 v59, v59, v71, -v106
	v_fma_f16 v60, v60, v72, -v88
	s_waitcnt lgkmcnt(1)
	v_lshrrev_b32_e32 v103, 16, v67
	s_waitcnt vmcnt(7)
	v_mul_f16_sdwa v104, v67, v79 dst_sel:DWORD dst_unused:UNUSED_PAD src0_sel:DWORD src1_sel:WORD_1
	v_lshrrev_b32_e32 v105, 16, v68
	v_fma_f16 v101, v101, v78, v102
	v_fma_f16 v61, v61, v73, -v90
	v_fma_f16 v62, v62, v74, -v92
	;; [unrolled: 1-line block ×6, first 2 shown]
	v_pack_b32_f16 v59, v59, v87
	v_pack_b32_f16 v60, v60, v89
	v_mul_f16_sdwa v102, v103, v79 dst_sel:DWORD dst_unused:UNUSED_PAD src0_sel:DWORD src1_sel:WORD_1
	v_fma_f16 v103, v103, v79, v104
	s_waitcnt vmcnt(6)
	v_mul_f16_sdwa v104, v105, v80 dst_sel:DWORD dst_unused:UNUSED_PAD src0_sel:DWORD src1_sel:WORD_1
	v_pack_b32_f16 v61, v61, v91
	v_pack_b32_f16 v62, v62, v93
	;; [unrolled: 1-line block ×6, first 2 shown]
	ds_write2_b32 v25, v59, v60 offset0:18 offset1:36
	ds_write2_b32 v25, v61, v62 offset0:54 offset1:72
	;; [unrolled: 1-line block ×4, first 2 shown]
	v_mul_f16_sdwa v59, v68, v80 dst_sel:DWORD dst_unused:UNUSED_PAD src0_sel:DWORD src1_sel:WORD_1
	v_fma_f16 v67, v67, v79, -v102
	v_fma_f16 v71, v68, v80, -v104
	v_fma_f16 v59, v105, v80, v59
	v_pack_b32_f16 v67, v67, v103
	v_pack_b32_f16 v59, v71, v59
	ds_write2_b32 v25, v67, v59 offset0:162 offset1:180
	s_waitcnt lgkmcnt(5)
	v_lshrrev_b32_e32 v59, 16, v69
	s_waitcnt vmcnt(5)
	v_mul_f16_sdwa v60, v59, v81 dst_sel:DWORD dst_unused:UNUSED_PAD src0_sel:DWORD src1_sel:WORD_1
	v_mul_f16_sdwa v61, v69, v81 dst_sel:DWORD dst_unused:UNUSED_PAD src0_sel:DWORD src1_sel:WORD_1
	v_fma_f16 v60, v69, v81, -v60
	v_fma_f16 v59, v59, v81, v61
	v_lshrrev_b32_e32 v62, 16, v70
	v_pack_b32_f16 v61, v60, v59
	s_waitcnt vmcnt(4)
	v_mul_f16_sdwa v59, v62, v82 dst_sel:DWORD dst_unused:UNUSED_PAD src0_sel:DWORD src1_sel:WORD_1
	v_fma_f16 v63, v70, v82, -v59
	ds_read2_b32 v[59:60], v25 offset0:234 offset1:252
	v_mul_f16_sdwa v64, v70, v82 dst_sel:DWORD dst_unused:UNUSED_PAD src0_sel:DWORD src1_sel:WORD_1
	v_fma_f16 v62, v62, v82, v64
	v_pack_b32_f16 v62, v63, v62
	ds_write2_b32 v25, v61, v62 offset0:198 offset1:216
	s_waitcnt lgkmcnt(1)
	v_lshrrev_b32_e32 v61, 16, v59
	s_waitcnt vmcnt(3)
	v_mul_f16_sdwa v62, v61, v83 dst_sel:DWORD dst_unused:UNUSED_PAD src0_sel:DWORD src1_sel:WORD_1
	v_fma_f16 v62, v59, v83, -v62
	v_mul_f16_sdwa v59, v59, v83 dst_sel:DWORD dst_unused:UNUSED_PAD src0_sel:DWORD src1_sel:WORD_1
	v_lshrrev_b32_e32 v63, 16, v60
	v_fma_f16 v59, v61, v83, v59
	s_waitcnt vmcnt(2)
	v_mul_f16_sdwa v61, v63, v84 dst_sel:DWORD dst_unused:UNUSED_PAD src0_sel:DWORD src1_sel:WORD_1
	v_add_u32_e32 v65, 0x400, v25
	v_pack_b32_f16 v59, v62, v59
	v_fma_f16 v64, v60, v84, -v61
	ds_read2_b32 v[61:62], v65 offset0:14 offset1:32
	v_mul_f16_sdwa v60, v60, v84 dst_sel:DWORD dst_unused:UNUSED_PAD src0_sel:DWORD src1_sel:WORD_1
	v_fma_f16 v60, v63, v84, v60
	v_pack_b32_f16 v60, v64, v60
	ds_write2_b32 v25, v59, v60 offset0:234 offset1:252
	s_waitcnt lgkmcnt(1)
	v_lshrrev_b32_e32 v59, 16, v61
	s_waitcnt vmcnt(1)
	v_mul_f16_sdwa v60, v59, v85 dst_sel:DWORD dst_unused:UNUSED_PAD src0_sel:DWORD src1_sel:WORD_1
	v_fma_f16 v60, v61, v85, -v60
	v_mul_f16_sdwa v61, v61, v85 dst_sel:DWORD dst_unused:UNUSED_PAD src0_sel:DWORD src1_sel:WORD_1
	v_fma_f16 v59, v59, v85, v61
	v_pack_b32_f16 v59, v60, v59
	v_lshrrev_b32_e32 v60, 16, v62
	s_waitcnt vmcnt(0)
	v_mul_f16_sdwa v61, v60, v86 dst_sel:DWORD dst_unused:UNUSED_PAD src0_sel:DWORD src1_sel:WORD_1
	v_fma_f16 v61, v62, v86, -v61
	v_mul_f16_sdwa v62, v62, v86 dst_sel:DWORD dst_unused:UNUSED_PAD src0_sel:DWORD src1_sel:WORD_1
	v_fma_f16 v60, v60, v86, v62
	v_pack_b32_f16 v60, v61, v60
	ds_write2_b32 v65, v59, v60 offset0:14 offset1:32
.LBB0_13:
	s_or_b64 exec, exec, s[4:5]
	s_waitcnt lgkmcnt(0)
	s_barrier
	s_and_saveexec_b64 s[4:5], s[0:1]
	s_cbranch_execz .LBB0_15
; %bb.14:
	v_add_u32_e32 v9, 0x400, v25
	ds_read_b32 v30, v25
	ds_read2_b32 v[17:18], v25 offset0:18 offset1:36
	ds_read2_b32 v[21:22], v25 offset0:54 offset1:72
	;; [unrolled: 1-line block ×8, first 2 shown]
	s_waitcnt lgkmcnt(8)
	v_lshrrev_b32_e32 v50, 16, v30
	s_waitcnt lgkmcnt(7)
	v_lshrrev_b32_e32 v51, 16, v17
	v_lshrrev_b32_e32 v52, 16, v18
	s_waitcnt lgkmcnt(6)
	v_lshrrev_b32_e32 v55, 16, v21
	;; [unrolled: 3-line block ×8, first 2 shown]
	v_lshrrev_b32_e32 v32, 16, v10
.LBB0_15:
	s_or_b64 exec, exec, s[4:5]
	v_sub_f16_e32 v82, v51, v32
	v_add_f16_e32 v63, v10, v17
	v_mul_f16_e32 v59, 0xb1e1, v82
	s_mov_b32 s14, 0xbbdd
	v_sub_f16_e32 v83, v52, v34
	v_add_f16_e32 v84, v32, v51
	v_fma_f16 v60, v63, s14, v59
	v_add_f16_e32 v64, v9, v18
	v_mul_f16_e32 v66, 0x35c8, v83
	s_movk_i32 s16, 0x3b76
	v_sub_f16_e32 v65, v17, v10
	s_mov_b32 s15, 0xb1e1
	v_add_f16_e32 v60, v30, v60
	v_mul_f16_e32 v61, 0xbbdd, v84
	s_movk_i32 s26, 0x31e1
	v_fma_f16 v59, v63, s14, -v59
	v_add_f16_e32 v86, v34, v52
	v_fma_f16 v68, v64, s16, v66
	v_fma_f16 v62, v65, s26, v61
	v_add_f16_e32 v59, v30, v59
	v_fma_f16 v61, v65, s15, v61
	v_sub_f16_e32 v67, v18, v9
	s_movk_i32 s20, 0x35c8
	v_add_f16_e32 v60, v68, v60
	v_mul_f16_e32 v68, 0x3b76, v86
	v_fma_f16 v66, v64, s16, -v66
	v_add_f16_e32 v61, v50, v61
	s_mov_b32 s19, 0xb5c8
	v_add_f16_e32 v59, v66, v59
	v_fma_f16 v66, v67, s20, v68
	v_sub_f16_e32 v85, v55, v35
	v_fma_f16 v69, v67, s19, v68
	v_add_f16_e32 v61, v66, v61
	v_add_f16_e32 v66, v12, v21
	v_mul_f16_e32 v68, 0xb836, v85
	s_mov_b32 s17, 0xbacd
	v_add_f16_e32 v62, v50, v62
	v_add_f16_e32 v88, v35, v55
	v_fma_f16 v70, v66, s17, v68
	v_add_f16_e32 v62, v69, v62
	v_sub_f16_e32 v69, v21, v12
	s_mov_b32 s18, 0xb836
	v_add_f16_e32 v60, v70, v60
	v_mul_f16_e32 v70, 0xbacd, v88
	v_fma_f16 v68, v66, s17, -v68
	s_movk_i32 s25, 0x3836
	v_add_f16_e32 v59, v68, v59
	v_fma_f16 v68, v69, s18, v70
	v_sub_f16_e32 v87, v57, v36
	v_fma_f16 v71, v69, s25, v70
	v_add_f16_e32 v61, v68, v61
	v_add_f16_e32 v68, v11, v22
	v_mul_f16_e32 v70, 0x3964, v87
	s_movk_i32 s21, 0x39e9
	v_add_f16_e32 v90, v36, v57
	v_fma_f16 v72, v68, s21, v70
	v_add_f16_e32 v62, v71, v62
	v_sub_f16_e32 v71, v22, v11
	s_movk_i32 s34, 0x3964
	v_add_f16_e32 v60, v72, v60
	v_mul_f16_e32 v72, 0x39e9, v90
	v_fma_f16 v70, v68, s21, -v70
	s_mov_b32 s23, 0xb964
	v_add_f16_e32 v59, v70, v59
	v_fma_f16 v70, v71, s34, v72
	v_sub_f16_e32 v89, v58, v37
	v_fma_f16 v73, v71, s23, v72
	v_add_f16_e32 v61, v70, v61
	v_add_f16_e32 v70, v14, v23
	v_mul_f16_e32 v72, 0xba62, v89
	s_mov_b32 s22, 0xb8d2
	v_add_f16_e32 v92, v37, v58
	v_fma_f16 v74, v70, s22, v72
	v_add_f16_e32 v62, v73, v62
	v_sub_f16_e32 v73, v23, v14
	s_mov_b32 s24, 0xba62
	v_add_f16_e32 v60, v74, v60
	v_mul_f16_e32 v74, 0xb8d2, v92
	v_fma_f16 v72, v70, s22, -v72
	s_movk_i32 s37, 0x3a62
	v_add_f16_e32 v59, v72, v59
	v_fma_f16 v72, v73, s24, v74
	v_sub_f16_e32 v91, v56, v38
	v_fma_f16 v75, v73, s37, v74
	v_add_f16_e32 v61, v72, v61
	v_add_f16_e32 v72, v13, v24
	v_mul_f16_e32 v74, 0x3b29, v91
	s_movk_i32 s27, 0x3722
	v_add_f16_e32 v94, v38, v56
	v_fma_f16 v76, v72, s27, v74
	v_add_f16_e32 v62, v75, v62
	v_sub_f16_e32 v75, v24, v13
	s_movk_i32 s33, 0x3b29
	v_add_f16_e32 v60, v76, v60
	v_mul_f16_e32 v76, 0x3722, v94
	v_fma_f16 v74, v72, s27, -v74
	s_mov_b32 s29, 0xbb29
	v_add_f16_e32 v59, v74, v59
	v_fma_f16 v74, v75, s33, v76
	v_sub_f16_e32 v93, v54, v33
	v_fma_f16 v77, v75, s29, v76
	v_add_f16_e32 v61, v74, v61
	v_add_f16_e32 v74, v16, v19
	v_mul_f16_e32 v76, 0xbbb2, v93
	s_mov_b32 s28, 0xb461
	v_add_f16_e32 v96, v33, v54
	v_fma_f16 v78, v74, s28, v76
	v_add_f16_e32 v62, v77, v62
	v_sub_f16_e32 v77, v19, v16
	v_add_f16_e32 v60, v78, v60
	v_mul_f16_e32 v78, 0xb461, v96
	s_movk_i32 s36, 0x3bb2
	s_mov_b32 s30, 0xbbb2
	v_fma_f16 v79, v77, s36, v78
	v_fma_f16 v76, v74, s28, -v76
	v_add_f16_e32 v62, v79, v62
	v_add_f16_e32 v79, v76, v59
	v_fma_f16 v59, v77, s30, v78
	v_sub_f16_e32 v95, v53, v49
	v_add_f16_e32 v80, v59, v61
	v_add_f16_e32 v76, v15, v20
	;; [unrolled: 1-line block ×3, first 2 shown]
	v_mul_f16_e32 v61, 0x3bf7, v95
	s_movk_i32 s31, 0x2de8
	v_sub_f16_e32 v78, v20, v15
	v_fma_f16 v59, v76, s31, v61
	v_mul_f16_e32 v81, 0x2de8, v97
	s_mov_b32 s35, 0xbbf7
	s_movk_i32 s38, 0x3bf7
	v_add_f16_e32 v59, v59, v60
	v_fma_f16 v60, v78, s35, v81
	v_add_f16_e32 v60, v60, v62
	v_fma_f16 v61, v76, s31, -v61
	v_fma_f16 v62, v78, s38, v81
	v_add_f16_e32 v61, v61, v79
	v_add_f16_e32 v62, v62, v80
	s_barrier
	s_and_saveexec_b64 s[4:5], s[0:1]
	s_cbranch_execz .LBB0_17
; %bb.16:
	v_mul_f16_e32 v98, 0xbacd, v84
	v_fma_f16 v79, v65, s25, v98
	v_mul_f16_e32 v99, 0x3722, v86
	v_add_f16_e32 v79, v50, v79
	v_fma_f16 v80, v67, s29, v99
	v_mul_f16_e32 v100, 0x2de8, v88
	v_add_f16_e32 v79, v80, v79
	;; [unrolled: 3-line block ×17, first 2 shown]
	v_fma_f16 v116, v67, s30, v115
	v_add_f16_e32 v81, v116, v81
	v_mul_f16_e32 v116, 0x3b76, v88
	v_fma_f16 v117, v69, s20, v116
	v_add_f16_e32 v81, v117, v81
	v_mul_f16_e32 v117, 0xbacd, v90
	;; [unrolled: 3-line block ×7, first 2 shown]
	v_fma_f16 v123, v63, s22, v122
	v_mul_f16_e32 v124, 0x3bb2, v83
	v_add_f16_e32 v123, v30, v123
	v_fma_f16 v125, v64, s28, v124
	v_add_f16_e32 v123, v125, v123
	v_mul_f16_e32 v125, 0xb5c8, v85
	v_fma_f16 v126, v66, s16, v125
	v_add_f16_e32 v123, v126, v123
	v_mul_f16_e32 v126, 0xb836, v87
	;; [unrolled: 3-line block ×7, first 2 shown]
	v_fma_f16 v132, v65, s36, v131
	v_mul_f16_e32 v133, 0xbacd, v86
	v_add_f16_e32 v132, v50, v132
	v_fma_f16 v134, v67, s18, v133
	v_add_f16_e32 v132, v134, v132
	v_mul_f16_e32 v134, 0x39e9, v88
	v_fma_f16 v135, v69, s23, v134
	v_add_f16_e32 v132, v135, v132
	v_mul_f16_e32 v135, 0x3722, v90
	;; [unrolled: 3-line block ×5, first 2 shown]
	v_add_f16_e32 v17, v17, v30
	v_fma_f16 v139, v77, s20, v138
	v_add_f16_e32 v17, v18, v17
	v_add_f16_e32 v132, v139, v132
	v_mul_f16_e32 v139, 0xb8d2, v97
	v_add_f16_e32 v17, v21, v17
	v_fma_f16 v140, v78, s37, v139
	v_add_f16_e32 v17, v22, v17
	v_add_f16_e32 v132, v140, v132
	v_mul_f16_e32 v140, 0xbbb2, v82
	v_add_f16_e32 v17, v23, v17
	v_fma_f16 v141, v63, s28, v140
	v_mul_f16_e32 v142, 0x3836, v83
	v_add_f16_e32 v17, v24, v17
	v_add_f16_e32 v141, v30, v141
	v_fma_f16 v143, v64, s17, v142
	v_add_f16_e32 v17, v19, v17
	v_add_f16_e32 v141, v143, v141
	v_mul_f16_e32 v143, 0x3964, v85
	v_add_f16_e32 v17, v20, v17
	v_fma_f16 v144, v66, s21, v143
	v_add_f16_e32 v15, v15, v17
	v_add_f16_e32 v141, v144, v141
	v_mul_f16_e32 v144, 0xbb29, v87
	v_add_f16_e32 v15, v16, v15
	v_fma_f16 v145, v68, s27, v144
	v_add_f16_e32 v13, v13, v15
	v_add_f16_e32 v141, v145, v141
	v_mul_f16_e32 v145, 0xb1e1, v89
	v_add_f16_e32 v13, v14, v13
	v_fma_f16 v146, v70, s14, v145
	v_add_f16_e32 v11, v11, v13
	v_add_f16_e32 v141, v146, v141
	v_mul_f16_e32 v146, 0x3bf7, v91
	v_add_f16_e32 v11, v12, v11
	v_fma_f16 v147, v72, s31, v146
	v_add_f16_e32 v9, v9, v11
	v_fma_f16 v11, v65, s18, v98
	v_add_f16_e32 v141, v147, v141
	v_mul_f16_e32 v147, 0xb5c8, v93
	v_add_f16_e32 v11, v50, v11
	v_fma_f16 v12, v67, s33, v99
	v_fma_f16 v148, v74, s16, v147
	v_add_f16_e32 v11, v12, v11
	v_fma_f16 v12, v69, s35, v100
	v_add_f16_e32 v141, v148, v141
	v_mul_f16_e32 v148, 0xba62, v95
	v_add_f16_e32 v11, v12, v11
	v_fma_f16 v12, v71, s37, v101
	;; [unrolled: 7-line block ×3, first 2 shown]
	v_fma_f16 v150, v65, s38, v149
	v_mul_f16_e32 v151, 0xbbdd, v86
	v_add_f16_e32 v11, v12, v11
	v_fma_f16 v12, v77, s34, v104
	v_add_f16_e32 v150, v50, v150
	v_fma_f16 v152, v67, s26, v151
	;; [unrolled: 2-line block ×3, first 2 shown]
	v_add_f16_e32 v150, v152, v150
	v_mul_f16_e32 v152, 0xb461, v88
	v_add_f16_e32 v11, v12, v11
	v_fma_f16 v12, v63, s17, -v106
	v_fma_f16 v153, v69, s30, v152
	v_add_f16_e32 v12, v30, v12
	v_fma_f16 v13, v64, s27, -v107
	v_add_f16_e32 v150, v153, v150
	v_mul_f16_e32 v153, 0x3b76, v90
	v_add_f16_e32 v12, v13, v12
	v_fma_f16 v13, v66, s31, -v108
	v_fma_f16 v154, v71, s19, v153
	v_add_f16_e32 v12, v13, v12
	v_fma_f16 v13, v68, s22, -v109
	;; [unrolled: 7-line block ×4, first 2 shown]
	v_add_f16_e32 v150, v156, v150
	v_mul_f16_e32 v156, 0xb8d2, v96
	v_add_f16_e32 v12, v13, v12
	v_fma_f16 v13, v65, s24, v114
	v_fma_f16 v157, v77, s24, v156
	v_add_f16_e32 v13, v50, v13
	v_fma_f16 v14, v67, s36, v115
	v_add_f16_e32 v150, v157, v150
	v_mul_f16_e32 v157, 0x39e9, v97
	v_add_f16_e32 v13, v14, v13
	v_fma_f16 v14, v69, s19, v116
	v_fma_f16 v158, v78, s23, v157
	v_add_f16_e32 v13, v14, v13
	v_fma_f16 v14, v71, s18, v117
	v_add_f16_e32 v150, v158, v150
	v_mul_f16_e32 v158, 0xbbf7, v82
	v_add_f16_e32 v13, v14, v13
	v_fma_f16 v14, v73, s38, v118
	v_fma_f16 v159, v63, s31, v158
	v_mul_f16_e32 v160, 0xb1e1, v83
	v_add_f16_e32 v13, v14, v13
	v_fma_f16 v14, v75, s23, v119
	v_add_f16_e32 v159, v30, v159
	v_fma_f16 v161, v64, s14, v160
	;; [unrolled: 2-line block ×3, first 2 shown]
	v_add_f16_e32 v159, v161, v159
	v_mul_f16_e32 v161, 0x3bb2, v85
	v_add_f16_e32 v13, v14, v13
	v_fma_f16 v14, v78, s33, v121
	v_fma_f16 v162, v66, s28, v161
	v_add_f16_e32 v13, v14, v13
	v_fma_f16 v14, v63, s22, -v122
	v_add_f16_e32 v159, v162, v159
	v_mul_f16_e32 v162, 0x35c8, v87
	v_add_f16_e32 v14, v30, v14
	v_fma_f16 v15, v64, s28, -v124
	v_fma_f16 v163, v68, s16, v162
	v_add_f16_e32 v14, v15, v14
	v_fma_f16 v15, v66, s16, -v125
	v_add_f16_e32 v159, v163, v159
	v_mul_f16_e32 v163, 0xbb29, v89
	v_add_f16_e32 v14, v15, v14
	v_fma_f16 v15, v68, s17, -v126
	;; [unrolled: 7-line block ×4, first 2 shown]
	v_fma_f16 v166, v74, s22, v165
	v_add_f16_e32 v14, v15, v14
	v_fma_f16 v15, v65, s30, v131
	v_add_f16_e32 v159, v166, v159
	v_mul_f16_e32 v166, 0x3964, v95
	v_add_f16_e32 v15, v50, v15
	v_fma_f16 v16, v67, s25, v133
	v_fma_f16 v167, v76, s21, v166
	v_add_f16_e32 v15, v16, v15
	v_fma_f16 v16, v69, s34, v134
	v_add_f16_e32 v159, v167, v159
	v_mul_f16_e32 v167, 0x3722, v84
	v_add_f16_e32 v15, v16, v15
	v_fma_f16 v16, v71, s29, v135
	v_fma_f16 v168, v65, s33, v167
	v_mul_f16_e32 v169, 0xb8d2, v86
	v_add_f16_e32 v15, v16, v15
	v_fma_f16 v16, v73, s15, v136
	v_add_f16_e32 v168, v50, v168
	v_fma_f16 v170, v67, s37, v169
	;; [unrolled: 2-line block ×3, first 2 shown]
	v_add_f16_e32 v168, v170, v168
	v_mul_f16_e32 v170, 0xbbdd, v88
	v_add_f16_e32 v15, v16, v15
	v_fma_f16 v16, v77, s19, v138
	v_fma_f16 v171, v69, s15, v170
	v_add_f16_e32 v15, v16, v15
	v_fma_f16 v16, v78, s24, v139
	v_add_f16_e32 v168, v171, v168
	v_mul_f16_e32 v171, 0xb461, v90
	v_add_f16_e32 v15, v16, v15
	v_fma_f16 v16, v63, s28, -v140
	v_fma_f16 v172, v71, s30, v171
	v_add_f16_e32 v16, v30, v16
	v_fma_f16 v17, v64, s17, -v142
	v_add_f16_e32 v168, v172, v168
	v_mul_f16_e32 v172, 0x39e9, v92
	v_add_f16_e32 v16, v17, v16
	v_fma_f16 v17, v66, s21, -v143
	v_fma_f16 v173, v73, s23, v172
	v_add_f16_e32 v16, v17, v16
	v_fma_f16 v17, v68, s27, -v144
	;; [unrolled: 7-line block ×4, first 2 shown]
	v_add_f16_e32 v168, v175, v168
	v_mul_f16_e32 v175, 0xbacd, v97
	v_add_f16_e32 v16, v17, v16
	v_fma_f16 v17, v65, s35, v149
	v_fma_f16 v176, v78, s25, v175
	v_add_f16_e32 v17, v50, v17
	v_fma_f16 v18, v67, s15, v151
	v_add_f16_e32 v168, v176, v168
	v_mul_f16_e32 v176, 0xbb29, v82
	v_add_f16_e32 v17, v18, v17
	v_fma_f16 v18, v69, s36, v152
	v_fma_f16 v177, v63, s27, v176
	v_mul_f16_e32 v178, 0xba62, v83
	v_add_f16_e32 v17, v18, v17
	v_fma_f16 v18, v71, s20, v153
	v_add_f16_e32 v177, v30, v177
	v_fma_f16 v179, v64, s22, v178
	;; [unrolled: 2-line block ×3, first 2 shown]
	v_add_f16_e32 v177, v179, v177
	v_mul_f16_e32 v179, 0x31e1, v85
	v_add_f16_e32 v17, v18, v17
	v_fma_f16 v18, v75, s18, v155
	v_fma_f16 v180, v66, s14, v179
	v_add_f16_e32 v17, v18, v17
	v_fma_f16 v18, v77, s37, v156
	v_add_f16_e32 v177, v180, v177
	v_mul_f16_e32 v180, 0x3bb2, v87
	v_add_f16_e32 v17, v18, v17
	v_fma_f16 v18, v78, s34, v157
	v_fma_f16 v181, v68, s28, v180
	v_add_f16_e32 v17, v18, v17
	v_fma_f16 v18, v63, s31, -v158
	v_add_f16_e32 v177, v181, v177
	v_mul_f16_e32 v181, 0x3964, v89
	v_add_f16_e32 v18, v30, v18
	v_fma_f16 v19, v64, s14, -v160
	v_fma_f16 v182, v70, s21, v181
	v_add_f16_e32 v18, v19, v18
	v_fma_f16 v19, v66, s28, -v161
	v_add_f16_e32 v177, v182, v177
	v_mul_f16_e32 v182, 0xb5c8, v91
	v_add_f16_e32 v18, v19, v18
	v_fma_f16 v19, v68, s16, -v162
	;; [unrolled: 7-line block ×4, first 2 shown]
	v_fma_f16 v185, v76, s17, v184
	v_add_f16_e32 v18, v19, v18
	v_fma_f16 v19, v65, s29, v167
	v_add_f16_e32 v177, v185, v177
	v_mul_f16_e32 v185, 0x39e9, v84
	v_add_f16_e32 v19, v50, v19
	v_fma_f16 v20, v67, s24, v169
	v_fma_f16 v186, v65, s34, v185
	v_mul_f16_e32 v187, 0x2de8, v86
	v_add_f16_e32 v19, v20, v19
	v_fma_f16 v20, v69, s26, v170
	v_add_f16_e32 v186, v50, v186
	v_fma_f16 v188, v67, s38, v187
	;; [unrolled: 2-line block ×3, first 2 shown]
	v_add_f16_e32 v186, v188, v186
	v_mul_f16_e32 v188, 0xb8d2, v88
	v_add_f16_e32 v19, v20, v19
	v_fma_f16 v20, v73, s34, v172
	v_fma_f16 v189, v69, s37, v188
	v_add_f16_e32 v19, v20, v19
	v_fma_f16 v20, v75, s19, v173
	v_add_f16_e32 v186, v189, v186
	v_mul_f16_e32 v189, 0xbbdd, v90
	v_add_f16_e32 v19, v20, v19
	v_fma_f16 v20, v77, s35, v174
	v_fma_f16 v190, v71, s26, v189
	v_add_f16_e32 v19, v20, v19
	v_fma_f16 v20, v78, s18, v175
	v_add_f16_e32 v186, v190, v186
	v_mul_f16_e32 v190, 0xbacd, v92
	v_add_f16_e32 v19, v20, v19
	v_fma_f16 v20, v63, s27, -v176
	v_fma_f16 v191, v73, s18, v190
	v_add_f16_e32 v20, v30, v20
	v_fma_f16 v21, v64, s22, -v178
	v_add_f16_e32 v186, v191, v186
	v_mul_f16_e32 v191, 0xb461, v94
	v_add_f16_e32 v20, v21, v20
	v_fma_f16 v21, v66, s14, -v179
	v_fma_f16 v192, v75, s30, v191
	v_add_f16_e32 v20, v21, v20
	v_fma_f16 v21, v68, s28, -v180
	;; [unrolled: 7-line block ×4, first 2 shown]
	v_add_f16_e32 v186, v194, v186
	v_mul_f16_e32 v194, 0xb964, v82
	v_add_f16_e32 v20, v21, v20
	v_fma_f16 v21, v65, s23, v185
	v_fma_f16 v195, v63, s21, v194
	v_mul_f16_e32 v196, 0xbbf7, v83
	v_add_f16_e32 v21, v50, v21
	v_fma_f16 v22, v67, s35, v187
	v_add_f16_e32 v195, v30, v195
	v_fma_f16 v197, v64, s31, v196
	;; [unrolled: 2-line block ×3, first 2 shown]
	v_add_f16_e32 v195, v197, v195
	v_mul_f16_e32 v197, 0xba62, v85
	v_add_f16_e32 v21, v22, v21
	v_fma_f16 v22, v71, s15, v189
	v_fma_f16 v198, v66, s22, v197
	v_add_f16_e32 v21, v22, v21
	v_fma_f16 v22, v73, s25, v190
	v_add_f16_e32 v195, v198, v195
	v_mul_f16_e32 v198, 0xb1e1, v87
	v_add_f16_e32 v21, v22, v21
	v_fma_f16 v22, v75, s36, v191
	v_fma_f16 v199, v68, s14, v198
	v_add_f16_e32 v21, v22, v21
	v_fma_f16 v22, v77, s33, v192
	v_add_f16_e32 v195, v199, v195
	v_mul_f16_e32 v199, 0x3836, v89
	v_add_f16_e32 v21, v22, v21
	v_fma_f16 v22, v78, s20, v193
	v_fma_f16 v200, v70, s17, v199
	v_add_f16_e32 v21, v22, v21
	v_fma_f16 v22, v63, s21, -v194
	v_add_f16_e32 v195, v200, v195
	v_mul_f16_e32 v200, 0x3bb2, v91
	v_add_f16_e32 v22, v30, v22
	v_fma_f16 v23, v64, s31, -v196
	v_fma_f16 v201, v72, s28, v200
	v_add_f16_e32 v22, v23, v22
	v_fma_f16 v23, v66, s22, -v197
	v_add_f16_e32 v195, v201, v195
	v_mul_f16_e32 v201, 0x3b29, v93
	v_add_f16_e32 v22, v23, v22
	v_fma_f16 v23, v68, s14, -v198
	;; [unrolled: 7-line block ×3, first 2 shown]
	v_fma_f16 v203, v76, s16, v202
	v_mul_f16_e32 v84, 0x3b76, v84
	v_add_f16_e32 v22, v23, v22
	v_fma_f16 v23, v74, s27, -v201
	v_add_f16_e32 v195, v203, v195
	v_fma_f16 v203, v65, s20, v84
	v_mul_f16_e32 v86, 0x39e9, v86
	v_add_f16_e32 v22, v23, v22
	v_fma_f16 v23, v76, s16, -v202
	v_add_f16_e32 v203, v50, v203
	v_fma_f16 v204, v67, s34, v86
	v_mul_f16_e32 v88, 0x3722, v88
	v_add_f16_e32 v9, v10, v9
	v_add_f16_e32 v10, v51, v50
	;; [unrolled: 1-line block ×3, first 2 shown]
	v_fma_f16 v23, v65, s19, v84
	v_add_f16_e32 v203, v204, v203
	v_fma_f16 v204, v69, s33, v88
	v_mul_f16_e32 v90, 0x2de8, v90
	v_add_f16_e32 v10, v52, v10
	v_add_f16_e32 v23, v50, v23
	v_fma_f16 v24, v67, s23, v86
	v_add_f16_e32 v203, v204, v203
	v_fma_f16 v204, v71, s38, v90
	v_mul_f16_e32 v92, 0xb461, v92
	v_add_f16_e32 v10, v55, v10
	v_add_f16_e32 v23, v24, v23
	;; [unrolled: 6-line block ×8, first 2 shown]
	v_fma_f16 v24, v63, s16, -v82
	v_add_f16_e32 v204, v205, v204
	v_fma_f16 v205, v66, s27, v85
	v_mul_f16_e32 v87, 0xbbf7, v87
	v_add_f16_e32 v10, v33, v10
	v_add_f16_e32 v24, v30, v24
	v_fma_f16 v30, v64, s21, -v83
	v_add_f16_e32 v204, v205, v204
	v_fma_f16 v205, v68, s31, v87
	v_mul_f16_e32 v89, 0xbbb2, v89
	v_add_f16_e32 v10, v38, v10
	v_add_f16_e32 v24, v30, v24
	;; [unrolled: 6-line block ×5, first 2 shown]
	v_fma_f16 v30, v72, s22, -v91
	v_add_f16_e32 v204, v205, v204
	v_fma_f16 v205, v76, s14, v95
	v_add_f16_e32 v10, v34, v10
	v_add_f16_e32 v24, v30, v24
	v_fma_f16 v30, v74, s17, -v93
	v_add_f16_e32 v204, v205, v204
	v_add_f16_e32 v10, v32, v10
	;; [unrolled: 1-line block ×3, first 2 shown]
	v_fma_f16 v30, v76, s14, -v95
	v_add_f16_e32 v24, v30, v24
	v_lshl_add_u32 v29, v29, 2, v28
	v_pack_b32_f16 v30, v204, v203
	v_pack_b32_f16 v9, v9, v10
	ds_write2_b32 v29, v9, v30 offset1:1
	v_pack_b32_f16 v9, v177, v168
	v_pack_b32_f16 v10, v195, v186
	ds_write2_b32 v29, v10, v9 offset0:2 offset1:3
	v_pack_b32_f16 v9, v141, v132
	v_pack_b32_f16 v10, v159, v150
	ds_write2_b32 v29, v10, v9 offset0:4 offset1:5
	v_pack_b32_f16 v9, v80, v79
	v_pack_b32_f16 v10, v123, v81
	s_mov_b32 s14, 0x5040100
	ds_write2_b32 v29, v10, v9 offset0:6 offset1:7
	v_perm_b32 v9, v62, v61, s14
	v_perm_b32 v10, v60, v59, s14
	ds_write2_b32 v29, v10, v9 offset0:8 offset1:9
	v_pack_b32_f16 v9, v14, v13
	v_pack_b32_f16 v10, v12, v11
	ds_write2_b32 v29, v10, v9 offset0:10 offset1:11
	v_pack_b32_f16 v9, v18, v17
	v_pack_b32_f16 v10, v16, v15
	;; [unrolled: 3-line block ×3, first 2 shown]
	ds_write2_b32 v29, v10, v9 offset0:14 offset1:15
	v_pack_b32_f16 v9, v24, v23
	ds_write_b32 v29, v9 offset:64
.LBB0_17:
	s_or_b64 exec, exec, s[4:5]
	s_waitcnt lgkmcnt(0)
	s_barrier
	ds_read2_b32 v[11:12], v31 offset1:34
	ds_read2_b32 v[15:16], v31 offset0:153 offset1:187
	ds_read2_b32 v[9:10], v31 offset0:68 offset1:102
	;; [unrolled: 1-line block ×3, first 2 shown]
	s_and_saveexec_b64 s[4:5], s[2:3]
	s_cbranch_execz .LBB0_19
; %bb.18:
	ds_read_b32 v59, v31 offset:544
	ds_read_b32 v61, v31 offset:1156
	s_waitcnt lgkmcnt(1)
	v_lshrrev_b32_e32 v60, 16, v59
	s_waitcnt lgkmcnt(0)
	v_lshrrev_b32_e32 v62, 16, v61
.LBB0_19:
	s_or_b64 exec, exec, s[4:5]
	s_waitcnt lgkmcnt(2)
	v_lshrrev_b32_e32 v18, 16, v15
	v_mul_f16_sdwa v29, v44, v18 dst_sel:DWORD dst_unused:UNUSED_PAD src0_sel:WORD_1 src1_sel:DWORD
	v_lshrrev_b32_e32 v20, 16, v16
	v_fma_f16 v29, v44, v15, v29
	v_mul_f16_sdwa v15, v44, v15 dst_sel:DWORD dst_unused:UNUSED_PAD src0_sel:WORD_1 src1_sel:DWORD
	v_fma_f16 v15, v44, v18, -v15
	v_mul_f16_sdwa v18, v43, v20 dst_sel:DWORD dst_unused:UNUSED_PAD src0_sel:WORD_1 src1_sel:DWORD
	s_waitcnt lgkmcnt(0)
	v_lshrrev_b32_e32 v22, 16, v13
	v_fma_f16 v18, v43, v16, v18
	v_mul_f16_sdwa v16, v43, v16 dst_sel:DWORD dst_unused:UNUSED_PAD src0_sel:WORD_1 src1_sel:DWORD
	v_fma_f16 v16, v43, v20, -v16
	v_mul_f16_sdwa v20, v42, v22 dst_sel:DWORD dst_unused:UNUSED_PAD src0_sel:WORD_1 src1_sel:DWORD
	v_lshrrev_b32_e32 v24, 16, v14
	v_fma_f16 v20, v42, v13, v20
	v_mul_f16_sdwa v13, v42, v13 dst_sel:DWORD dst_unused:UNUSED_PAD src0_sel:WORD_1 src1_sel:DWORD
	v_fma_f16 v13, v42, v22, -v13
	v_mul_f16_sdwa v22, v41, v24 dst_sel:DWORD dst_unused:UNUSED_PAD src0_sel:WORD_1 src1_sel:DWORD
	v_lshrrev_b32_e32 v17, 16, v11
	v_fma_f16 v22, v41, v14, v22
	v_mul_f16_sdwa v14, v41, v14 dst_sel:DWORD dst_unused:UNUSED_PAD src0_sel:WORD_1 src1_sel:DWORD
	v_lshrrev_b32_e32 v19, 16, v12
	v_fma_f16 v14, v41, v24, -v14
	v_sub_f16_e32 v24, v11, v29
	v_sub_f16_e32 v15, v17, v15
	v_lshrrev_b32_e32 v21, 16, v9
	v_fma_f16 v11, v11, 2.0, -v24
	v_fma_f16 v17, v17, 2.0, -v15
	v_sub_f16_e32 v18, v12, v18
	v_sub_f16_e32 v16, v19, v16
	v_lshrrev_b32_e32 v23, 16, v10
	v_fma_f16 v12, v12, 2.0, -v18
	v_fma_f16 v19, v19, 2.0, -v16
	v_sub_f16_e32 v20, v9, v20
	v_sub_f16_e32 v13, v21, v13
	v_pack_b32_f16 v11, v11, v17
	v_pack_b32_f16 v15, v24, v15
	v_fma_f16 v9, v9, 2.0, -v20
	v_fma_f16 v21, v21, 2.0, -v13
	v_sub_f16_e32 v22, v10, v22
	v_sub_f16_e32 v14, v23, v14
	s_barrier
	ds_write2_b32 v45, v11, v15 offset1:17
	v_pack_b32_f16 v11, v12, v19
	v_pack_b32_f16 v12, v18, v16
	v_fma_f16 v10, v10, 2.0, -v22
	v_fma_f16 v23, v23, 2.0, -v14
	ds_write2_b32 v46, v11, v12 offset1:17
	v_pack_b32_f16 v9, v9, v21
	v_pack_b32_f16 v11, v20, v13
	ds_write2_b32 v47, v9, v11 offset1:17
	v_pack_b32_f16 v9, v10, v23
	v_pack_b32_f16 v10, v22, v14
	ds_write2_b32 v48, v9, v10 offset1:17
	s_and_saveexec_b64 s[4:5], s[2:3]
	s_cbranch_execz .LBB0_21
; %bb.20:
	v_mul_f16_sdwa v9, v40, v62 dst_sel:DWORD dst_unused:UNUSED_PAD src0_sel:WORD_1 src1_sel:DWORD
	v_mul_f16_sdwa v11, v40, v61 dst_sel:DWORD dst_unused:UNUSED_PAD src0_sel:WORD_1 src1_sel:DWORD
	v_fma_f16 v9, v40, v61, v9
	v_fma_f16 v11, v40, v62, -v11
	v_sub_f16_e32 v9, v59, v9
	v_sub_f16_e32 v11, v60, v11
	v_and_b32_e32 v13, 0xff, v39
	v_fma_f16 v10, v59, 2.0, -v9
	v_fma_f16 v12, v60, 2.0, -v11
	v_lshl_add_u32 v13, v13, 2, v28
	v_pack_b32_f16 v10, v10, v12
	v_pack_b32_f16 v9, v9, v11
	v_add_u32_e32 v11, 0x400, v13
	ds_write2_b32 v11, v10, v9 offset0:16 offset1:33
.LBB0_21:
	s_or_b64 exec, exec, s[4:5]
	s_waitcnt lgkmcnt(0)
	s_barrier
	ds_read2_b32 v[9:10], v31 offset1:34
	ds_read2_b32 v[11:12], v31 offset0:68 offset1:102
	ds_read2_b32 v[13:14], v31 offset0:136 offset1:170
	ds_read2_b32 v[15:16], v31 offset0:204 offset1:238
	ds_read_b32 v21, v31 offset:1088
	s_waitcnt lgkmcnt(4)
	v_lshrrev_b32_e32 v18, 16, v10
	v_mul_f16_sdwa v30, v0, v18 dst_sel:DWORD dst_unused:UNUSED_PAD src0_sel:WORD_1 src1_sel:DWORD
	s_waitcnt lgkmcnt(3)
	v_lshrrev_b32_e32 v19, 16, v11
	v_fma_f16 v30, v0, v10, v30
	v_mul_f16_sdwa v10, v0, v10 dst_sel:DWORD dst_unused:UNUSED_PAD src0_sel:WORD_1 src1_sel:DWORD
	v_fma_f16 v0, v0, v18, -v10
	v_mul_f16_sdwa v10, v1, v19 dst_sel:DWORD dst_unused:UNUSED_PAD src0_sel:WORD_1 src1_sel:DWORD
	v_lshrrev_b32_e32 v20, 16, v12
	v_fma_f16 v10, v1, v11, v10
	v_mul_f16_sdwa v11, v1, v11 dst_sel:DWORD dst_unused:UNUSED_PAD src0_sel:WORD_1 src1_sel:DWORD
	v_fma_f16 v1, v1, v19, -v11
	v_mul_f16_sdwa v11, v2, v20 dst_sel:DWORD dst_unused:UNUSED_PAD src0_sel:WORD_1 src1_sel:DWORD
	s_waitcnt lgkmcnt(2)
	v_lshrrev_b32_e32 v22, 16, v13
	v_fma_f16 v11, v2, v12, v11
	v_mul_f16_sdwa v12, v2, v12 dst_sel:DWORD dst_unused:UNUSED_PAD src0_sel:WORD_1 src1_sel:DWORD
	v_fma_f16 v2, v2, v20, -v12
	v_mul_f16_sdwa v12, v3, v22 dst_sel:DWORD dst_unused:UNUSED_PAD src0_sel:WORD_1 src1_sel:DWORD
	v_lshrrev_b32_e32 v23, 16, v14
	v_fma_f16 v12, v3, v13, v12
	v_mul_f16_sdwa v13, v3, v13 dst_sel:DWORD dst_unused:UNUSED_PAD src0_sel:WORD_1 src1_sel:DWORD
	v_fma_f16 v3, v3, v22, -v13
	;; [unrolled: 11-line block ×3, first 2 shown]
	v_mul_f16_sdwa v15, v6, v28 dst_sel:DWORD dst_unused:UNUSED_PAD src0_sel:WORD_1 src1_sel:DWORD
	s_waitcnt lgkmcnt(0)
	v_lshrrev_b32_e32 v29, 16, v21
	v_fma_f16 v15, v6, v16, v15
	v_mul_f16_sdwa v16, v6, v16 dst_sel:DWORD dst_unused:UNUSED_PAD src0_sel:WORD_1 src1_sel:DWORD
	v_fma_f16 v6, v6, v28, -v16
	v_mul_f16_sdwa v16, v7, v29 dst_sel:DWORD dst_unused:UNUSED_PAD src0_sel:WORD_1 src1_sel:DWORD
	v_fma_f16 v16, v7, v21, v16
	v_mul_f16_sdwa v18, v7, v21 dst_sel:DWORD dst_unused:UNUSED_PAD src0_sel:WORD_1 src1_sel:DWORD
	v_fma_f16 v7, v7, v29, -v18
	v_add_f16_e32 v18, v30, v16
	v_sub_f16_e32 v16, v30, v16
	v_add_f16_e32 v19, v0, v7
	v_add_f16_e32 v21, v1, v6
	;; [unrolled: 1-line block ×4, first 2 shown]
	v_sub_f16_e32 v0, v0, v7
	v_sub_f16_e32 v7, v10, v15
	;; [unrolled: 1-line block ×5, first 2 shown]
	v_mul_f16_e32 v5, 0x3924, v16
	s_movk_i32 s2, 0x3be1
	v_sub_f16_e32 v11, v12, v13
	v_sub_f16_e32 v14, v3, v4
	v_add_f16_e32 v20, v10, v15
	v_mul_f16_e32 v10, 0x3924, v0
	v_fma_f16 v5, v7, s2, v5
	s_movk_i32 s3, 0x3aee
	v_mul_f16_e32 v30, 0xb924, v11
	v_mul_f16_e32 v31, 0xb924, v14
	v_fma_f16 v10, v1, s2, v10
	v_fma_f16 v5, v6, s3, v5
	s_movk_i32 s4, 0x3579
	v_fma_f16 v30, v16, s2, v30
	v_fma_f16 v31, v0, s2, v31
	s_mov_b32 s2, 0xbaee
	v_fma_f16 v10, v2, s3, v10
	v_fma_f16 v5, v11, s4, v5
	s_mov_b32 s16, 0xb924
	v_fma_f16 v30, v6, s2, v30
	v_add_f16_e32 v34, v11, v16
	v_mul_f16_e32 v11, 0x3be1, v11
	v_fma_f16 v10, v14, s4, v10
	v_fma_f16 v31, v2, s2, v31
	;; [unrolled: 1-line block ×3, first 2 shown]
	v_add_f16_e32 v35, v14, v0
	v_sub_f16_e32 v34, v34, v7
	v_mul_f16_e32 v14, 0x3be1, v14
	v_fma_f16 v7, v7, s16, -v11
	v_fma_f16 v31, v1, s4, v31
	v_sub_f16_e32 v35, v35, v1
	v_add_f16_e32 v41, v21, v19
	v_fma_f16 v1, v1, s16, -v14
	v_fma_f16 v6, v6, s3, v7
	v_lshrrev_b32_e32 v17, 16, v9
	s_movk_i32 s5, 0x3a21
	v_add_f16_e32 v28, v12, v13
	v_add_f16_e32 v29, v3, v4
	;; [unrolled: 1-line block ×3, first 2 shown]
	v_fma_f16 v1, v2, s3, v1
	v_fma_f16 v2, v16, s4, v6
	v_add_f16_e32 v6, v23, v41
	v_fma_f16 v15, v18, s5, v9
	v_fma_f16 v24, v19, s5, v17
	s_movk_i32 s14, 0x318f
	v_fma_f16 v32, v28, s5, v9
	v_fma_f16 v33, v29, s5, v17
	;; [unrolled: 1-line block ×3, first 2 shown]
	v_add_f16_e32 v1, v22, v40
	v_add_f16_e32 v3, v3, v6
	v_fma_f16 v15, v20, s14, v15
	v_fma_f16 v24, v21, s14, v24
	;; [unrolled: 1-line block ×4, first 2 shown]
	v_add_f16_e32 v1, v12, v1
	v_add_f16_e32 v3, v4, v3
	v_fma_f16 v4, v20, s5, v9
	v_fma_f16 v6, v21, s5, v17
	v_fma_f16 v15, v22, -0.5, v15
	v_fma_f16 v24, v23, -0.5, v24
	s_mov_b32 s15, 0xbb84
	v_fma_f16 v32, v22, -0.5, v32
	v_fma_f16 v33, v23, -0.5, v33
	v_add_f16_e32 v1, v13, v1
	v_fma_f16 v4, v28, s14, v4
	v_fma_f16 v6, v29, s14, v6
	;; [unrolled: 1-line block ×6, first 2 shown]
	v_add_f16_e32 v38, v22, v9
	v_add_f16_e32 v39, v23, v17
	v_add_f16_e32 v42, v28, v40
	v_add_f16_e32 v43, v29, v41
	v_add_f16_e32 v1, v1, v9
	v_add_f16_e32 v3, v3, v17
	v_fma_f16 v4, v22, -0.5, v4
	v_fma_f16 v6, v23, -0.5, v6
	v_sub_f16_e32 v15, v15, v10
	v_add_f16_e32 v24, v5, v24
	v_sub_f16_e32 v32, v32, v31
	v_add_f16_e32 v33, v30, v33
	v_fma_f16 v38, v42, -0.5, v38
	v_fma_f16 v39, v43, -0.5, v39
	v_fma_f16 v4, v18, s15, v4
	v_fma_f16 v6, v19, s15, v6
	v_pack_b32_f16 v1, v1, v3
	v_mul_f16_e32 v36, 0x3aee, v34
	v_mul_f16_e32 v37, 0x3aee, v35
	v_fma_f16 v35, v35, s2, v38
	v_fma_f16 v34, v34, s3, v39
	v_sub_f16_e32 v4, v4, v0
	v_add_f16_e32 v6, v2, v6
	ds_write_b32 v25, v1
	v_pack_b32_f16 v1, v15, v24
	v_pack_b32_f16 v3, v32, v33
	v_fma_f16 v37, v37, 2.0, v35
	v_fma_f16 v36, v36, -2.0, v34
	v_fma_f16 v0, v0, 2.0, v4
	v_fma_f16 v2, v2, -2.0, v6
	ds_write2_b32 v25, v1, v3 offset0:34 offset1:68
	v_pack_b32_f16 v1, v35, v34
	v_pack_b32_f16 v3, v4, v6
	v_fma_f16 v10, v10, 2.0, v15
	v_fma_f16 v5, v5, -2.0, v24
	v_fma_f16 v31, v31, 2.0, v32
	v_fma_f16 v30, v30, -2.0, v33
	ds_write2_b32 v25, v1, v3 offset0:102 offset1:136
	v_pack_b32_f16 v0, v0, v2
	v_pack_b32_f16 v1, v37, v36
	ds_write2_b32 v25, v0, v1 offset0:170 offset1:204
	v_pack_b32_f16 v0, v31, v30
	v_pack_b32_f16 v1, v10, v5
	v_add_u32_e32 v2, 0x200, v25
	ds_write2_b32 v2, v0, v1 offset0:110 offset1:144
	s_waitcnt lgkmcnt(0)
	s_barrier
	s_and_b64 exec, exec, s[0:1]
	s_cbranch_execz .LBB0_23
; %bb.22:
	global_load_dword v9, v27, s[6:7]
	v_mad_u64_u32 v[1:2], s[0:1], s10, v8, 0
	v_mad_u64_u32 v[3:4], s[0:1], s8, v26, 0
	ds_read_b32 v10, v25
	s_mov_b32 s14, 0x1ac5701b
	v_mad_u64_u32 v[5:6], s[0:1], s11, v8, v[2:3]
	s_mov_b32 s15, 0x3f6ac570
	v_mov_b32_e32 v11, s13
	v_mad_u64_u32 v[6:7], s[0:1], s9, v26, v[4:5]
	s_waitcnt lgkmcnt(0)
	v_lshrrev_b32_e32 v7, 16, v10
	v_mov_b32_e32 v2, v5
	v_mov_b32_e32 v4, v6
	v_lshlrev_b64 v[1:2], 2, v[1:2]
	v_lshlrev_b64 v[3:4], 2, v[3:4]
	v_add_co_u32_e32 v1, vcc, s12, v1
	v_addc_co_u32_e32 v2, vcc, v11, v2, vcc
	s_movk_i32 s16, 0x1ff
	v_add_co_u32_e32 v3, vcc, v1, v3
	v_addc_co_u32_e32 v4, vcc, v2, v4, vcc
	s_movk_i32 s10, 0xffe
	v_mov_b32_e32 v0, 0x7c00
	s_movk_i32 s18, 0x40f
	s_mov_b32 s17, 0x8000
	s_mul_hi_u32 s12, s8, 0x48
	s_mul_i32 s11, s8, 0x48
	s_waitcnt vmcnt(0)
	v_mul_f16_sdwa v5, v7, v9 dst_sel:DWORD dst_unused:UNUSED_PAD src0_sel:DWORD src1_sel:WORD_1
	v_fma_f16 v5, v10, v9, v5
	v_mul_f16_sdwa v6, v10, v9 dst_sel:DWORD dst_unused:UNUSED_PAD src0_sel:DWORD src1_sel:WORD_1
	v_cvt_f32_f16_e32 v5, v5
	v_fma_f16 v6, v9, v7, -v6
	v_cvt_f32_f16_e32 v7, v6
	v_cvt_f64_f32_e32 v[5:6], v5
	v_cvt_f64_f32_e32 v[7:8], v7
	v_mul_f64 v[5:6], v[5:6], s[14:15]
	v_mul_f64 v[7:8], v[7:8], s[14:15]
	v_and_or_b32 v5, v6, s16, v5
	v_cmp_ne_u32_e32 vcc, 0, v5
	v_and_or_b32 v7, v8, s16, v7
	v_lshrrev_b32_e32 v9, 8, v6
	v_bfe_u32 v10, v6, 20, 11
	v_cndmask_b32_e64 v5, 0, 1, vcc
	v_cmp_ne_u32_e32 vcc, 0, v7
	v_lshrrev_b32_e32 v11, 8, v8
	v_bfe_u32 v12, v8, 20, 11
	v_sub_u32_e32 v13, 0x3f1, v10
	v_cndmask_b32_e64 v7, 0, 1, vcc
	v_and_or_b32 v5, v9, s10, v5
	v_sub_u32_e32 v14, 0x3f1, v12
	v_med3_i32 v9, v13, 0, 13
	v_and_or_b32 v7, v11, s10, v7
	v_or_b32_e32 v13, 0x1000, v5
	v_add_u32_e32 v10, 0xfffffc10, v10
	v_med3_i32 v11, v14, 0, 13
	v_cmp_ne_u32_e32 vcc, 0, v5
	v_or_b32_e32 v15, 0x1000, v7
	v_lshrrev_b32_e32 v17, v9, v13
	v_add_u32_e32 v12, 0xfffffc10, v12
	v_lshl_or_b32 v14, v10, 12, v5
	v_cndmask_b32_e64 v5, 0, 1, vcc
	v_cmp_ne_u32_e32 vcc, 0, v7
	v_lshrrev_b32_e32 v18, v11, v15
	v_lshlrev_b32_e32 v9, v9, v17
	v_lshl_or_b32 v16, v12, 12, v7
	v_cndmask_b32_e64 v7, 0, 1, vcc
	v_lshlrev_b32_e32 v11, v11, v18
	v_cmp_ne_u32_e32 vcc, v9, v13
	v_cndmask_b32_e64 v9, 0, 1, vcc
	v_cmp_ne_u32_e32 vcc, v11, v15
	v_cndmask_b32_e64 v11, 0, 1, vcc
	v_or_b32_e32 v9, v17, v9
	v_cmp_gt_i32_e32 vcc, 1, v10
	v_cndmask_b32_e32 v9, v14, v9, vcc
	v_or_b32_e32 v11, v18, v11
	v_cmp_gt_i32_e32 vcc, 1, v12
	v_and_b32_e32 v13, 7, v9
	v_cndmask_b32_e32 v11, v16, v11, vcc
	v_cmp_lt_i32_e32 vcc, 5, v13
	v_cmp_eq_u32_e64 s[0:1], 3, v13
	v_lshrrev_b32_e32 v9, 2, v9
	v_and_b32_e32 v14, 7, v11
	s_or_b64 vcc, s[0:1], vcc
	v_cmp_lt_i32_e64 s[2:3], 5, v14
	v_cmp_eq_u32_e64 s[4:5], 3, v14
	v_addc_co_u32_e32 v9, vcc, 0, v9, vcc
	v_lshrrev_b32_e32 v11, 2, v11
	s_or_b64 vcc, s[4:5], s[2:3]
	v_addc_co_u32_e32 v11, vcc, 0, v11, vcc
	v_cmp_gt_i32_e32 vcc, 31, v10
	v_cndmask_b32_e32 v9, v0, v9, vcc
	v_cmp_gt_i32_e32 vcc, 31, v12
	v_lshl_or_b32 v5, v5, 9, v0
	v_cndmask_b32_e32 v11, v0, v11, vcc
	v_cmp_eq_u32_e32 vcc, s18, v10
	v_lshrrev_b32_e32 v6, 16, v6
	v_lshl_or_b32 v7, v7, 9, v0
	v_cndmask_b32_e32 v5, v9, v5, vcc
	v_cmp_eq_u32_e32 vcc, s18, v12
	v_lshrrev_b32_e32 v8, 16, v8
	v_cndmask_b32_e32 v7, v11, v7, vcc
	v_and_or_b32 v5, v6, s17, v5
	v_and_or_b32 v6, v8, s17, v7
	v_and_b32_e32 v5, 0xffff, v5
	v_lshl_or_b32 v5, v6, 16, v5
	global_store_dword v[3:4], v5, off
	global_load_dword v7, v27, s[6:7] offset:72
	ds_read2_b32 v[5:6], v25 offset0:18 offset1:36
	s_mul_i32 s0, s9, 0x48
	s_add_i32 s12, s12, s0
	v_add_co_u32_e32 v3, vcc, s11, v3
	s_waitcnt lgkmcnt(0)
	v_lshrrev_b32_e32 v8, 16, v5
	s_waitcnt vmcnt(0)
	v_mul_f16_sdwa v9, v8, v7 dst_sel:DWORD dst_unused:UNUSED_PAD src0_sel:DWORD src1_sel:WORD_1
	v_fma_f16 v9, v5, v7, v9
	v_mul_f16_sdwa v5, v5, v7 dst_sel:DWORD dst_unused:UNUSED_PAD src0_sel:DWORD src1_sel:WORD_1
	v_cvt_f32_f16_e32 v9, v9
	v_fma_f16 v5, v7, v8, -v5
	v_cvt_f32_f16_e32 v5, v5
	v_cvt_f64_f32_e32 v[7:8], v9
	v_cvt_f64_f32_e32 v[9:10], v5
	v_mov_b32_e32 v5, s12
	v_mul_f64 v[7:8], v[7:8], s[14:15]
	v_addc_co_u32_e32 v4, vcc, v4, v5, vcc
	v_mul_f64 v[9:10], v[9:10], s[14:15]
	v_and_or_b32 v5, v8, s16, v7
	v_cmp_ne_u32_e32 vcc, 0, v5
	v_lshrrev_b32_e32 v7, 8, v8
	v_and_or_b32 v9, v10, s16, v9
	v_bfe_u32 v11, v8, 20, 11
	v_cndmask_b32_e64 v5, 0, 1, vcc
	v_cmp_ne_u32_e32 vcc, 0, v9
	v_lshrrev_b32_e32 v12, 8, v10
	v_bfe_u32 v13, v10, 20, 11
	v_sub_u32_e32 v14, 0x3f1, v11
	v_cndmask_b32_e64 v9, 0, 1, vcc
	v_and_or_b32 v5, v7, s10, v5
	v_sub_u32_e32 v15, 0x3f1, v13
	v_med3_i32 v7, v14, 0, 13
	v_and_or_b32 v9, v12, s10, v9
	v_or_b32_e32 v14, 0x1000, v5
	v_add_u32_e32 v11, 0xfffffc10, v11
	v_med3_i32 v12, v15, 0, 13
	v_cmp_ne_u32_e32 vcc, 0, v5
	v_or_b32_e32 v16, 0x1000, v9
	v_lshrrev_b32_e32 v18, v7, v14
	v_add_u32_e32 v13, 0xfffffc10, v13
	v_lshl_or_b32 v15, v11, 12, v5
	v_cndmask_b32_e64 v5, 0, 1, vcc
	v_cmp_ne_u32_e32 vcc, 0, v9
	v_lshrrev_b32_e32 v19, v12, v16
	v_lshlrev_b32_e32 v7, v7, v18
	v_lshl_or_b32 v17, v13, 12, v9
	v_cndmask_b32_e64 v9, 0, 1, vcc
	v_lshlrev_b32_e32 v12, v12, v19
	v_cmp_ne_u32_e32 vcc, v7, v14
	v_cndmask_b32_e64 v7, 0, 1, vcc
	v_cmp_ne_u32_e32 vcc, v12, v16
	v_cndmask_b32_e64 v12, 0, 1, vcc
	v_or_b32_e32 v7, v18, v7
	v_cmp_gt_i32_e32 vcc, 1, v11
	v_cndmask_b32_e32 v7, v15, v7, vcc
	v_or_b32_e32 v12, v19, v12
	v_cmp_gt_i32_e32 vcc, 1, v13
	v_and_b32_e32 v14, 7, v7
	v_cndmask_b32_e32 v12, v17, v12, vcc
	v_cmp_lt_i32_e32 vcc, 5, v14
	v_cmp_eq_u32_e64 s[0:1], 3, v14
	v_lshrrev_b32_e32 v7, 2, v7
	v_and_b32_e32 v15, 7, v12
	s_or_b64 vcc, s[0:1], vcc
	v_cmp_lt_i32_e64 s[2:3], 5, v15
	v_cmp_eq_u32_e64 s[4:5], 3, v15
	v_addc_co_u32_e32 v7, vcc, 0, v7, vcc
	v_lshrrev_b32_e32 v12, 2, v12
	s_or_b64 vcc, s[4:5], s[2:3]
	v_addc_co_u32_e32 v12, vcc, 0, v12, vcc
	v_cmp_gt_i32_e32 vcc, 31, v11
	v_cndmask_b32_e32 v7, v0, v7, vcc
	v_cmp_gt_i32_e32 vcc, 31, v13
	v_lshl_or_b32 v5, v5, 9, v0
	v_cndmask_b32_e32 v12, v0, v12, vcc
	v_cmp_eq_u32_e32 vcc, s18, v11
	v_lshrrev_b32_e32 v8, 16, v8
	v_lshl_or_b32 v9, v9, 9, v0
	v_cndmask_b32_e32 v5, v7, v5, vcc
	v_cmp_eq_u32_e32 vcc, s18, v13
	v_lshrrev_b32_e32 v10, 16, v10
	v_cndmask_b32_e32 v7, v12, v9, vcc
	v_and_or_b32 v5, v8, s17, v5
	v_and_or_b32 v7, v10, s17, v7
	v_and_b32_e32 v5, 0xffff, v5
	v_lshl_or_b32 v5, v7, 16, v5
	global_store_dword v[3:4], v5, off
	global_load_dword v5, v27, s[6:7] offset:144
	v_lshrrev_b32_e32 v7, 16, v6
	v_mov_b32_e32 v9, s12
	v_add_co_u32_e32 v3, vcc, s11, v3
	v_addc_co_u32_e32 v4, vcc, v4, v9, vcc
	s_waitcnt vmcnt(0)
	v_mul_f16_sdwa v8, v7, v5 dst_sel:DWORD dst_unused:UNUSED_PAD src0_sel:DWORD src1_sel:WORD_1
	v_fma_f16 v8, v6, v5, v8
	v_mul_f16_sdwa v6, v6, v5 dst_sel:DWORD dst_unused:UNUSED_PAD src0_sel:DWORD src1_sel:WORD_1
	v_cvt_f32_f16_e32 v8, v8
	v_fma_f16 v5, v5, v7, -v6
	v_cvt_f32_f16_e32 v7, v5
	v_cvt_f64_f32_e32 v[5:6], v8
	v_cvt_f64_f32_e32 v[7:8], v7
	v_mul_f64 v[5:6], v[5:6], s[14:15]
	v_mul_f64 v[7:8], v[7:8], s[14:15]
	v_and_or_b32 v5, v6, s16, v5
	v_cmp_ne_u32_e32 vcc, 0, v5
	v_and_or_b32 v7, v8, s16, v7
	v_lshrrev_b32_e32 v9, 8, v6
	v_bfe_u32 v10, v6, 20, 11
	v_cndmask_b32_e64 v5, 0, 1, vcc
	v_cmp_ne_u32_e32 vcc, 0, v7
	v_lshrrev_b32_e32 v11, 8, v8
	v_bfe_u32 v12, v8, 20, 11
	v_sub_u32_e32 v13, 0x3f1, v10
	v_cndmask_b32_e64 v7, 0, 1, vcc
	v_and_or_b32 v5, v9, s10, v5
	v_sub_u32_e32 v14, 0x3f1, v12
	v_med3_i32 v9, v13, 0, 13
	v_and_or_b32 v7, v11, s10, v7
	v_or_b32_e32 v13, 0x1000, v5
	v_add_u32_e32 v10, 0xfffffc10, v10
	v_med3_i32 v11, v14, 0, 13
	v_cmp_ne_u32_e32 vcc, 0, v5
	v_or_b32_e32 v15, 0x1000, v7
	v_lshrrev_b32_e32 v17, v9, v13
	v_add_u32_e32 v12, 0xfffffc10, v12
	v_lshl_or_b32 v14, v10, 12, v5
	v_cndmask_b32_e64 v5, 0, 1, vcc
	v_cmp_ne_u32_e32 vcc, 0, v7
	v_lshrrev_b32_e32 v18, v11, v15
	v_lshlrev_b32_e32 v9, v9, v17
	v_lshl_or_b32 v16, v12, 12, v7
	v_cndmask_b32_e64 v7, 0, 1, vcc
	v_lshlrev_b32_e32 v11, v11, v18
	v_cmp_ne_u32_e32 vcc, v9, v13
	v_cndmask_b32_e64 v9, 0, 1, vcc
	v_cmp_ne_u32_e32 vcc, v11, v15
	v_cndmask_b32_e64 v11, 0, 1, vcc
	v_or_b32_e32 v9, v17, v9
	v_cmp_gt_i32_e32 vcc, 1, v10
	v_cndmask_b32_e32 v9, v14, v9, vcc
	v_or_b32_e32 v11, v18, v11
	v_cmp_gt_i32_e32 vcc, 1, v12
	v_and_b32_e32 v13, 7, v9
	v_cndmask_b32_e32 v11, v16, v11, vcc
	v_cmp_lt_i32_e32 vcc, 5, v13
	v_cmp_eq_u32_e64 s[0:1], 3, v13
	v_lshrrev_b32_e32 v9, 2, v9
	v_and_b32_e32 v14, 7, v11
	s_or_b64 vcc, s[0:1], vcc
	v_cmp_lt_i32_e64 s[2:3], 5, v14
	v_cmp_eq_u32_e64 s[4:5], 3, v14
	v_addc_co_u32_e32 v9, vcc, 0, v9, vcc
	v_lshrrev_b32_e32 v11, 2, v11
	s_or_b64 vcc, s[4:5], s[2:3]
	v_addc_co_u32_e32 v11, vcc, 0, v11, vcc
	v_cmp_gt_i32_e32 vcc, 31, v10
	v_cndmask_b32_e32 v9, v0, v9, vcc
	v_cmp_gt_i32_e32 vcc, 31, v12
	v_lshl_or_b32 v5, v5, 9, v0
	v_cndmask_b32_e32 v11, v0, v11, vcc
	v_cmp_eq_u32_e32 vcc, s18, v10
	v_lshrrev_b32_e32 v6, 16, v6
	v_lshl_or_b32 v7, v7, 9, v0
	v_cndmask_b32_e32 v5, v9, v5, vcc
	v_cmp_eq_u32_e32 vcc, s18, v12
	v_lshrrev_b32_e32 v8, 16, v8
	v_cndmask_b32_e32 v7, v11, v7, vcc
	v_and_or_b32 v5, v6, s17, v5
	v_and_or_b32 v6, v8, s17, v7
	v_and_b32_e32 v5, 0xffff, v5
	v_lshl_or_b32 v5, v6, 16, v5
	global_store_dword v[3:4], v5, off
	global_load_dword v7, v27, s[6:7] offset:216
	ds_read2_b32 v[5:6], v25 offset0:54 offset1:72
	v_add_co_u32_e32 v3, vcc, s11, v3
	s_waitcnt lgkmcnt(0)
	v_lshrrev_b32_e32 v8, 16, v5
	s_waitcnt vmcnt(0)
	v_mul_f16_sdwa v9, v8, v7 dst_sel:DWORD dst_unused:UNUSED_PAD src0_sel:DWORD src1_sel:WORD_1
	v_fma_f16 v9, v5, v7, v9
	v_mul_f16_sdwa v5, v5, v7 dst_sel:DWORD dst_unused:UNUSED_PAD src0_sel:DWORD src1_sel:WORD_1
	v_cvt_f32_f16_e32 v9, v9
	v_fma_f16 v5, v7, v8, -v5
	v_cvt_f32_f16_e32 v5, v5
	v_cvt_f64_f32_e32 v[7:8], v9
	v_cvt_f64_f32_e32 v[9:10], v5
	v_mov_b32_e32 v5, s12
	v_mul_f64 v[7:8], v[7:8], s[14:15]
	v_addc_co_u32_e32 v4, vcc, v4, v5, vcc
	v_mul_f64 v[9:10], v[9:10], s[14:15]
	v_and_or_b32 v5, v8, s16, v7
	v_cmp_ne_u32_e32 vcc, 0, v5
	v_lshrrev_b32_e32 v7, 8, v8
	v_and_or_b32 v9, v10, s16, v9
	v_bfe_u32 v11, v8, 20, 11
	v_cndmask_b32_e64 v5, 0, 1, vcc
	v_cmp_ne_u32_e32 vcc, 0, v9
	v_lshrrev_b32_e32 v12, 8, v10
	v_bfe_u32 v13, v10, 20, 11
	v_sub_u32_e32 v14, 0x3f1, v11
	v_cndmask_b32_e64 v9, 0, 1, vcc
	v_and_or_b32 v5, v7, s10, v5
	v_sub_u32_e32 v15, 0x3f1, v13
	v_med3_i32 v7, v14, 0, 13
	v_and_or_b32 v9, v12, s10, v9
	v_or_b32_e32 v14, 0x1000, v5
	v_add_u32_e32 v11, 0xfffffc10, v11
	v_med3_i32 v12, v15, 0, 13
	v_cmp_ne_u32_e32 vcc, 0, v5
	v_or_b32_e32 v16, 0x1000, v9
	v_lshrrev_b32_e32 v18, v7, v14
	v_add_u32_e32 v13, 0xfffffc10, v13
	v_lshl_or_b32 v15, v11, 12, v5
	v_cndmask_b32_e64 v5, 0, 1, vcc
	v_cmp_ne_u32_e32 vcc, 0, v9
	v_lshrrev_b32_e32 v19, v12, v16
	v_lshlrev_b32_e32 v7, v7, v18
	v_lshl_or_b32 v17, v13, 12, v9
	v_cndmask_b32_e64 v9, 0, 1, vcc
	v_lshlrev_b32_e32 v12, v12, v19
	v_cmp_ne_u32_e32 vcc, v7, v14
	v_cndmask_b32_e64 v7, 0, 1, vcc
	v_cmp_ne_u32_e32 vcc, v12, v16
	v_cndmask_b32_e64 v12, 0, 1, vcc
	v_or_b32_e32 v7, v18, v7
	v_cmp_gt_i32_e32 vcc, 1, v11
	v_cndmask_b32_e32 v7, v15, v7, vcc
	v_or_b32_e32 v12, v19, v12
	v_cmp_gt_i32_e32 vcc, 1, v13
	v_and_b32_e32 v14, 7, v7
	v_cndmask_b32_e32 v12, v17, v12, vcc
	v_cmp_lt_i32_e32 vcc, 5, v14
	v_cmp_eq_u32_e64 s[0:1], 3, v14
	v_lshrrev_b32_e32 v7, 2, v7
	v_and_b32_e32 v15, 7, v12
	s_or_b64 vcc, s[0:1], vcc
	v_cmp_lt_i32_e64 s[2:3], 5, v15
	v_cmp_eq_u32_e64 s[4:5], 3, v15
	v_addc_co_u32_e32 v7, vcc, 0, v7, vcc
	v_lshrrev_b32_e32 v12, 2, v12
	s_or_b64 vcc, s[4:5], s[2:3]
	v_addc_co_u32_e32 v12, vcc, 0, v12, vcc
	v_cmp_gt_i32_e32 vcc, 31, v11
	v_cndmask_b32_e32 v7, v0, v7, vcc
	v_cmp_gt_i32_e32 vcc, 31, v13
	v_lshl_or_b32 v5, v5, 9, v0
	v_cndmask_b32_e32 v12, v0, v12, vcc
	v_cmp_eq_u32_e32 vcc, s18, v11
	v_lshrrev_b32_e32 v8, 16, v8
	v_lshl_or_b32 v9, v9, 9, v0
	v_cndmask_b32_e32 v5, v7, v5, vcc
	v_cmp_eq_u32_e32 vcc, s18, v13
	v_lshrrev_b32_e32 v10, 16, v10
	v_cndmask_b32_e32 v7, v12, v9, vcc
	v_and_or_b32 v5, v8, s17, v5
	v_and_or_b32 v7, v10, s17, v7
	v_and_b32_e32 v5, 0xffff, v5
	v_lshl_or_b32 v5, v7, 16, v5
	global_store_dword v[3:4], v5, off
	global_load_dword v5, v27, s[6:7] offset:288
	v_lshrrev_b32_e32 v7, 16, v6
	v_mov_b32_e32 v9, s12
	v_add_co_u32_e32 v3, vcc, s11, v3
	v_addc_co_u32_e32 v4, vcc, v4, v9, vcc
	s_waitcnt vmcnt(0)
	v_mul_f16_sdwa v8, v7, v5 dst_sel:DWORD dst_unused:UNUSED_PAD src0_sel:DWORD src1_sel:WORD_1
	v_fma_f16 v8, v6, v5, v8
	v_mul_f16_sdwa v6, v6, v5 dst_sel:DWORD dst_unused:UNUSED_PAD src0_sel:DWORD src1_sel:WORD_1
	v_cvt_f32_f16_e32 v8, v8
	v_fma_f16 v5, v5, v7, -v6
	v_cvt_f32_f16_e32 v7, v5
	v_cvt_f64_f32_e32 v[5:6], v8
	v_cvt_f64_f32_e32 v[7:8], v7
	v_mul_f64 v[5:6], v[5:6], s[14:15]
	v_mul_f64 v[7:8], v[7:8], s[14:15]
	v_and_or_b32 v5, v6, s16, v5
	v_cmp_ne_u32_e32 vcc, 0, v5
	v_and_or_b32 v7, v8, s16, v7
	v_lshrrev_b32_e32 v9, 8, v6
	v_bfe_u32 v10, v6, 20, 11
	v_cndmask_b32_e64 v5, 0, 1, vcc
	v_cmp_ne_u32_e32 vcc, 0, v7
	v_lshrrev_b32_e32 v11, 8, v8
	v_bfe_u32 v12, v8, 20, 11
	v_sub_u32_e32 v13, 0x3f1, v10
	v_cndmask_b32_e64 v7, 0, 1, vcc
	v_and_or_b32 v5, v9, s10, v5
	v_sub_u32_e32 v14, 0x3f1, v12
	v_med3_i32 v9, v13, 0, 13
	v_and_or_b32 v7, v11, s10, v7
	v_or_b32_e32 v13, 0x1000, v5
	v_add_u32_e32 v10, 0xfffffc10, v10
	v_med3_i32 v11, v14, 0, 13
	v_cmp_ne_u32_e32 vcc, 0, v5
	v_or_b32_e32 v15, 0x1000, v7
	v_lshrrev_b32_e32 v17, v9, v13
	v_add_u32_e32 v12, 0xfffffc10, v12
	v_lshl_or_b32 v14, v10, 12, v5
	v_cndmask_b32_e64 v5, 0, 1, vcc
	v_cmp_ne_u32_e32 vcc, 0, v7
	v_lshrrev_b32_e32 v18, v11, v15
	v_lshlrev_b32_e32 v9, v9, v17
	v_lshl_or_b32 v16, v12, 12, v7
	v_cndmask_b32_e64 v7, 0, 1, vcc
	v_lshlrev_b32_e32 v11, v11, v18
	v_cmp_ne_u32_e32 vcc, v9, v13
	v_cndmask_b32_e64 v9, 0, 1, vcc
	v_cmp_ne_u32_e32 vcc, v11, v15
	v_cndmask_b32_e64 v11, 0, 1, vcc
	v_or_b32_e32 v9, v17, v9
	v_cmp_gt_i32_e32 vcc, 1, v10
	v_cndmask_b32_e32 v9, v14, v9, vcc
	v_or_b32_e32 v11, v18, v11
	v_cmp_gt_i32_e32 vcc, 1, v12
	v_and_b32_e32 v13, 7, v9
	v_cndmask_b32_e32 v11, v16, v11, vcc
	v_cmp_lt_i32_e32 vcc, 5, v13
	v_cmp_eq_u32_e64 s[0:1], 3, v13
	v_lshrrev_b32_e32 v9, 2, v9
	v_and_b32_e32 v14, 7, v11
	s_or_b64 vcc, s[0:1], vcc
	v_cmp_lt_i32_e64 s[2:3], 5, v14
	v_cmp_eq_u32_e64 s[4:5], 3, v14
	v_addc_co_u32_e32 v9, vcc, 0, v9, vcc
	v_lshrrev_b32_e32 v11, 2, v11
	s_or_b64 vcc, s[4:5], s[2:3]
	v_addc_co_u32_e32 v11, vcc, 0, v11, vcc
	v_cmp_gt_i32_e32 vcc, 31, v10
	v_cndmask_b32_e32 v9, v0, v9, vcc
	v_cmp_gt_i32_e32 vcc, 31, v12
	v_lshl_or_b32 v5, v5, 9, v0
	v_cndmask_b32_e32 v11, v0, v11, vcc
	v_cmp_eq_u32_e32 vcc, s18, v10
	v_lshrrev_b32_e32 v6, 16, v6
	v_lshl_or_b32 v7, v7, 9, v0
	v_cndmask_b32_e32 v5, v9, v5, vcc
	v_cmp_eq_u32_e32 vcc, s18, v12
	v_lshrrev_b32_e32 v8, 16, v8
	v_cndmask_b32_e32 v7, v11, v7, vcc
	v_and_or_b32 v5, v6, s17, v5
	v_and_or_b32 v6, v8, s17, v7
	v_and_b32_e32 v5, 0xffff, v5
	v_lshl_or_b32 v5, v6, 16, v5
	global_store_dword v[3:4], v5, off
	global_load_dword v7, v27, s[6:7] offset:360
	ds_read2_b32 v[5:6], v25 offset0:90 offset1:108
	v_add_co_u32_e32 v3, vcc, s11, v3
	s_waitcnt lgkmcnt(0)
	v_lshrrev_b32_e32 v8, 16, v5
	s_waitcnt vmcnt(0)
	v_mul_f16_sdwa v9, v8, v7 dst_sel:DWORD dst_unused:UNUSED_PAD src0_sel:DWORD src1_sel:WORD_1
	v_fma_f16 v9, v5, v7, v9
	v_mul_f16_sdwa v5, v5, v7 dst_sel:DWORD dst_unused:UNUSED_PAD src0_sel:DWORD src1_sel:WORD_1
	v_cvt_f32_f16_e32 v9, v9
	v_fma_f16 v5, v7, v8, -v5
	v_cvt_f32_f16_e32 v5, v5
	v_cvt_f64_f32_e32 v[7:8], v9
	v_cvt_f64_f32_e32 v[9:10], v5
	v_mov_b32_e32 v5, s12
	v_mul_f64 v[7:8], v[7:8], s[14:15]
	v_addc_co_u32_e32 v4, vcc, v4, v5, vcc
	v_mul_f64 v[9:10], v[9:10], s[14:15]
	v_and_or_b32 v5, v8, s16, v7
	v_cmp_ne_u32_e32 vcc, 0, v5
	v_lshrrev_b32_e32 v7, 8, v8
	v_and_or_b32 v9, v10, s16, v9
	v_bfe_u32 v11, v8, 20, 11
	v_cndmask_b32_e64 v5, 0, 1, vcc
	v_cmp_ne_u32_e32 vcc, 0, v9
	v_lshrrev_b32_e32 v12, 8, v10
	v_bfe_u32 v13, v10, 20, 11
	v_sub_u32_e32 v14, 0x3f1, v11
	v_cndmask_b32_e64 v9, 0, 1, vcc
	v_and_or_b32 v5, v7, s10, v5
	v_sub_u32_e32 v15, 0x3f1, v13
	v_med3_i32 v7, v14, 0, 13
	v_and_or_b32 v9, v12, s10, v9
	v_or_b32_e32 v14, 0x1000, v5
	v_add_u32_e32 v11, 0xfffffc10, v11
	v_med3_i32 v12, v15, 0, 13
	v_cmp_ne_u32_e32 vcc, 0, v5
	v_or_b32_e32 v16, 0x1000, v9
	v_lshrrev_b32_e32 v18, v7, v14
	v_add_u32_e32 v13, 0xfffffc10, v13
	v_lshl_or_b32 v15, v11, 12, v5
	v_cndmask_b32_e64 v5, 0, 1, vcc
	v_cmp_ne_u32_e32 vcc, 0, v9
	v_lshrrev_b32_e32 v19, v12, v16
	v_lshlrev_b32_e32 v7, v7, v18
	v_lshl_or_b32 v17, v13, 12, v9
	v_cndmask_b32_e64 v9, 0, 1, vcc
	v_lshlrev_b32_e32 v12, v12, v19
	v_cmp_ne_u32_e32 vcc, v7, v14
	v_cndmask_b32_e64 v7, 0, 1, vcc
	v_cmp_ne_u32_e32 vcc, v12, v16
	v_cndmask_b32_e64 v12, 0, 1, vcc
	v_or_b32_e32 v7, v18, v7
	v_cmp_gt_i32_e32 vcc, 1, v11
	v_cndmask_b32_e32 v7, v15, v7, vcc
	v_or_b32_e32 v12, v19, v12
	v_cmp_gt_i32_e32 vcc, 1, v13
	v_and_b32_e32 v14, 7, v7
	v_cndmask_b32_e32 v12, v17, v12, vcc
	v_cmp_lt_i32_e32 vcc, 5, v14
	v_cmp_eq_u32_e64 s[0:1], 3, v14
	v_lshrrev_b32_e32 v7, 2, v7
	v_and_b32_e32 v15, 7, v12
	s_or_b64 vcc, s[0:1], vcc
	v_cmp_lt_i32_e64 s[2:3], 5, v15
	v_cmp_eq_u32_e64 s[4:5], 3, v15
	v_addc_co_u32_e32 v7, vcc, 0, v7, vcc
	v_lshrrev_b32_e32 v12, 2, v12
	s_or_b64 vcc, s[4:5], s[2:3]
	v_addc_co_u32_e32 v12, vcc, 0, v12, vcc
	v_cmp_gt_i32_e32 vcc, 31, v11
	v_cndmask_b32_e32 v7, v0, v7, vcc
	v_cmp_gt_i32_e32 vcc, 31, v13
	v_lshl_or_b32 v5, v5, 9, v0
	v_cndmask_b32_e32 v12, v0, v12, vcc
	v_cmp_eq_u32_e32 vcc, s18, v11
	v_lshrrev_b32_e32 v8, 16, v8
	v_lshl_or_b32 v9, v9, 9, v0
	v_cndmask_b32_e32 v5, v7, v5, vcc
	v_cmp_eq_u32_e32 vcc, s18, v13
	v_lshrrev_b32_e32 v10, 16, v10
	v_cndmask_b32_e32 v7, v12, v9, vcc
	v_and_or_b32 v5, v8, s17, v5
	v_and_or_b32 v7, v10, s17, v7
	v_and_b32_e32 v5, 0xffff, v5
	v_lshl_or_b32 v5, v7, 16, v5
	global_store_dword v[3:4], v5, off
	global_load_dword v5, v27, s[6:7] offset:432
	v_lshrrev_b32_e32 v7, 16, v6
	v_mov_b32_e32 v9, s12
	v_add_co_u32_e32 v3, vcc, s11, v3
	v_addc_co_u32_e32 v4, vcc, v4, v9, vcc
	s_waitcnt vmcnt(0)
	v_mul_f16_sdwa v8, v7, v5 dst_sel:DWORD dst_unused:UNUSED_PAD src0_sel:DWORD src1_sel:WORD_1
	v_fma_f16 v8, v6, v5, v8
	v_mul_f16_sdwa v6, v6, v5 dst_sel:DWORD dst_unused:UNUSED_PAD src0_sel:DWORD src1_sel:WORD_1
	v_cvt_f32_f16_e32 v8, v8
	v_fma_f16 v5, v5, v7, -v6
	v_cvt_f32_f16_e32 v7, v5
	v_cvt_f64_f32_e32 v[5:6], v8
	v_cvt_f64_f32_e32 v[7:8], v7
	v_mul_f64 v[5:6], v[5:6], s[14:15]
	v_mul_f64 v[7:8], v[7:8], s[14:15]
	v_and_or_b32 v5, v6, s16, v5
	v_cmp_ne_u32_e32 vcc, 0, v5
	v_and_or_b32 v7, v8, s16, v7
	v_lshrrev_b32_e32 v9, 8, v6
	v_bfe_u32 v10, v6, 20, 11
	v_cndmask_b32_e64 v5, 0, 1, vcc
	v_cmp_ne_u32_e32 vcc, 0, v7
	v_lshrrev_b32_e32 v11, 8, v8
	v_bfe_u32 v12, v8, 20, 11
	v_sub_u32_e32 v13, 0x3f1, v10
	v_cndmask_b32_e64 v7, 0, 1, vcc
	v_and_or_b32 v5, v9, s10, v5
	v_sub_u32_e32 v14, 0x3f1, v12
	v_med3_i32 v9, v13, 0, 13
	v_and_or_b32 v7, v11, s10, v7
	v_or_b32_e32 v13, 0x1000, v5
	v_add_u32_e32 v10, 0xfffffc10, v10
	v_med3_i32 v11, v14, 0, 13
	v_cmp_ne_u32_e32 vcc, 0, v5
	v_or_b32_e32 v15, 0x1000, v7
	v_lshrrev_b32_e32 v17, v9, v13
	v_add_u32_e32 v12, 0xfffffc10, v12
	v_lshl_or_b32 v14, v10, 12, v5
	v_cndmask_b32_e64 v5, 0, 1, vcc
	v_cmp_ne_u32_e32 vcc, 0, v7
	v_lshrrev_b32_e32 v18, v11, v15
	v_lshlrev_b32_e32 v9, v9, v17
	v_lshl_or_b32 v16, v12, 12, v7
	v_cndmask_b32_e64 v7, 0, 1, vcc
	v_lshlrev_b32_e32 v11, v11, v18
	v_cmp_ne_u32_e32 vcc, v9, v13
	v_cndmask_b32_e64 v9, 0, 1, vcc
	v_cmp_ne_u32_e32 vcc, v11, v15
	v_cndmask_b32_e64 v11, 0, 1, vcc
	v_or_b32_e32 v9, v17, v9
	v_cmp_gt_i32_e32 vcc, 1, v10
	v_cndmask_b32_e32 v9, v14, v9, vcc
	v_or_b32_e32 v11, v18, v11
	v_cmp_gt_i32_e32 vcc, 1, v12
	v_and_b32_e32 v13, 7, v9
	v_cndmask_b32_e32 v11, v16, v11, vcc
	v_cmp_lt_i32_e32 vcc, 5, v13
	v_cmp_eq_u32_e64 s[0:1], 3, v13
	v_lshrrev_b32_e32 v9, 2, v9
	v_and_b32_e32 v14, 7, v11
	s_or_b64 vcc, s[0:1], vcc
	v_cmp_lt_i32_e64 s[2:3], 5, v14
	v_cmp_eq_u32_e64 s[4:5], 3, v14
	v_addc_co_u32_e32 v9, vcc, 0, v9, vcc
	v_lshrrev_b32_e32 v11, 2, v11
	s_or_b64 vcc, s[4:5], s[2:3]
	v_addc_co_u32_e32 v11, vcc, 0, v11, vcc
	v_cmp_gt_i32_e32 vcc, 31, v10
	v_cndmask_b32_e32 v9, v0, v9, vcc
	v_cmp_gt_i32_e32 vcc, 31, v12
	v_lshl_or_b32 v5, v5, 9, v0
	v_cndmask_b32_e32 v11, v0, v11, vcc
	v_cmp_eq_u32_e32 vcc, s18, v10
	v_lshrrev_b32_e32 v6, 16, v6
	v_lshl_or_b32 v7, v7, 9, v0
	v_cndmask_b32_e32 v5, v9, v5, vcc
	v_cmp_eq_u32_e32 vcc, s18, v12
	v_lshrrev_b32_e32 v8, 16, v8
	v_cndmask_b32_e32 v7, v11, v7, vcc
	v_and_or_b32 v5, v6, s17, v5
	v_and_or_b32 v6, v8, s17, v7
	v_and_b32_e32 v5, 0xffff, v5
	v_lshl_or_b32 v5, v6, 16, v5
	global_store_dword v[3:4], v5, off
	global_load_dword v7, v27, s[6:7] offset:504
	ds_read2_b32 v[5:6], v25 offset0:126 offset1:144
	v_add_co_u32_e32 v3, vcc, s11, v3
	s_waitcnt lgkmcnt(0)
	v_lshrrev_b32_e32 v8, 16, v5
	s_waitcnt vmcnt(0)
	v_mul_f16_sdwa v9, v8, v7 dst_sel:DWORD dst_unused:UNUSED_PAD src0_sel:DWORD src1_sel:WORD_1
	v_fma_f16 v9, v5, v7, v9
	v_mul_f16_sdwa v5, v5, v7 dst_sel:DWORD dst_unused:UNUSED_PAD src0_sel:DWORD src1_sel:WORD_1
	v_cvt_f32_f16_e32 v9, v9
	v_fma_f16 v5, v7, v8, -v5
	v_cvt_f32_f16_e32 v5, v5
	v_cvt_f64_f32_e32 v[7:8], v9
	v_cvt_f64_f32_e32 v[9:10], v5
	v_mov_b32_e32 v5, s12
	v_mul_f64 v[7:8], v[7:8], s[14:15]
	v_addc_co_u32_e32 v4, vcc, v4, v5, vcc
	v_mul_f64 v[9:10], v[9:10], s[14:15]
	v_and_or_b32 v5, v8, s16, v7
	v_cmp_ne_u32_e32 vcc, 0, v5
	v_lshrrev_b32_e32 v7, 8, v8
	v_and_or_b32 v9, v10, s16, v9
	v_bfe_u32 v11, v8, 20, 11
	v_cndmask_b32_e64 v5, 0, 1, vcc
	v_cmp_ne_u32_e32 vcc, 0, v9
	v_lshrrev_b32_e32 v12, 8, v10
	v_bfe_u32 v13, v10, 20, 11
	v_sub_u32_e32 v14, 0x3f1, v11
	v_cndmask_b32_e64 v9, 0, 1, vcc
	v_and_or_b32 v5, v7, s10, v5
	v_sub_u32_e32 v15, 0x3f1, v13
	v_med3_i32 v7, v14, 0, 13
	v_and_or_b32 v9, v12, s10, v9
	v_or_b32_e32 v14, 0x1000, v5
	v_add_u32_e32 v11, 0xfffffc10, v11
	v_med3_i32 v12, v15, 0, 13
	v_cmp_ne_u32_e32 vcc, 0, v5
	v_or_b32_e32 v16, 0x1000, v9
	v_lshrrev_b32_e32 v18, v7, v14
	v_add_u32_e32 v13, 0xfffffc10, v13
	v_lshl_or_b32 v15, v11, 12, v5
	v_cndmask_b32_e64 v5, 0, 1, vcc
	v_cmp_ne_u32_e32 vcc, 0, v9
	v_lshrrev_b32_e32 v19, v12, v16
	v_lshlrev_b32_e32 v7, v7, v18
	v_lshl_or_b32 v17, v13, 12, v9
	v_cndmask_b32_e64 v9, 0, 1, vcc
	v_lshlrev_b32_e32 v12, v12, v19
	v_cmp_ne_u32_e32 vcc, v7, v14
	v_cndmask_b32_e64 v7, 0, 1, vcc
	v_cmp_ne_u32_e32 vcc, v12, v16
	v_cndmask_b32_e64 v12, 0, 1, vcc
	v_or_b32_e32 v7, v18, v7
	v_cmp_gt_i32_e32 vcc, 1, v11
	v_cndmask_b32_e32 v7, v15, v7, vcc
	v_or_b32_e32 v12, v19, v12
	v_cmp_gt_i32_e32 vcc, 1, v13
	v_and_b32_e32 v14, 7, v7
	v_cndmask_b32_e32 v12, v17, v12, vcc
	v_cmp_lt_i32_e32 vcc, 5, v14
	v_cmp_eq_u32_e64 s[0:1], 3, v14
	v_lshrrev_b32_e32 v7, 2, v7
	v_and_b32_e32 v15, 7, v12
	s_or_b64 vcc, s[0:1], vcc
	v_cmp_lt_i32_e64 s[2:3], 5, v15
	v_cmp_eq_u32_e64 s[4:5], 3, v15
	v_addc_co_u32_e32 v7, vcc, 0, v7, vcc
	v_lshrrev_b32_e32 v12, 2, v12
	s_or_b64 vcc, s[4:5], s[2:3]
	v_addc_co_u32_e32 v12, vcc, 0, v12, vcc
	v_cmp_gt_i32_e32 vcc, 31, v11
	v_cndmask_b32_e32 v7, v0, v7, vcc
	v_cmp_gt_i32_e32 vcc, 31, v13
	v_lshl_or_b32 v5, v5, 9, v0
	v_cndmask_b32_e32 v12, v0, v12, vcc
	v_cmp_eq_u32_e32 vcc, s18, v11
	v_lshrrev_b32_e32 v8, 16, v8
	v_lshl_or_b32 v9, v9, 9, v0
	v_cndmask_b32_e32 v5, v7, v5, vcc
	v_cmp_eq_u32_e32 vcc, s18, v13
	v_lshrrev_b32_e32 v10, 16, v10
	v_cndmask_b32_e32 v7, v12, v9, vcc
	v_and_or_b32 v5, v8, s17, v5
	v_and_or_b32 v7, v10, s17, v7
	v_and_b32_e32 v5, 0xffff, v5
	v_lshl_or_b32 v5, v7, 16, v5
	global_store_dword v[3:4], v5, off
	global_load_dword v5, v27, s[6:7] offset:576
	v_lshrrev_b32_e32 v7, 16, v6
	v_mov_b32_e32 v9, s12
	v_add_co_u32_e32 v3, vcc, s11, v3
	v_addc_co_u32_e32 v4, vcc, v4, v9, vcc
	s_waitcnt vmcnt(0)
	v_mul_f16_sdwa v8, v7, v5 dst_sel:DWORD dst_unused:UNUSED_PAD src0_sel:DWORD src1_sel:WORD_1
	v_fma_f16 v8, v6, v5, v8
	v_mul_f16_sdwa v6, v6, v5 dst_sel:DWORD dst_unused:UNUSED_PAD src0_sel:DWORD src1_sel:WORD_1
	v_cvt_f32_f16_e32 v8, v8
	v_fma_f16 v5, v5, v7, -v6
	v_cvt_f32_f16_e32 v7, v5
	v_cvt_f64_f32_e32 v[5:6], v8
	v_cvt_f64_f32_e32 v[7:8], v7
	v_mul_f64 v[5:6], v[5:6], s[14:15]
	v_mul_f64 v[7:8], v[7:8], s[14:15]
	v_and_or_b32 v5, v6, s16, v5
	v_cmp_ne_u32_e32 vcc, 0, v5
	v_and_or_b32 v7, v8, s16, v7
	v_lshrrev_b32_e32 v9, 8, v6
	v_bfe_u32 v10, v6, 20, 11
	v_cndmask_b32_e64 v5, 0, 1, vcc
	v_cmp_ne_u32_e32 vcc, 0, v7
	v_lshrrev_b32_e32 v11, 8, v8
	v_bfe_u32 v12, v8, 20, 11
	v_sub_u32_e32 v13, 0x3f1, v10
	v_cndmask_b32_e64 v7, 0, 1, vcc
	v_and_or_b32 v5, v9, s10, v5
	v_sub_u32_e32 v14, 0x3f1, v12
	v_med3_i32 v9, v13, 0, 13
	v_and_or_b32 v7, v11, s10, v7
	v_or_b32_e32 v13, 0x1000, v5
	v_add_u32_e32 v10, 0xfffffc10, v10
	v_med3_i32 v11, v14, 0, 13
	v_cmp_ne_u32_e32 vcc, 0, v5
	v_or_b32_e32 v15, 0x1000, v7
	v_lshrrev_b32_e32 v17, v9, v13
	v_add_u32_e32 v12, 0xfffffc10, v12
	v_lshl_or_b32 v14, v10, 12, v5
	v_cndmask_b32_e64 v5, 0, 1, vcc
	v_cmp_ne_u32_e32 vcc, 0, v7
	v_lshrrev_b32_e32 v18, v11, v15
	v_lshlrev_b32_e32 v9, v9, v17
	v_lshl_or_b32 v16, v12, 12, v7
	v_cndmask_b32_e64 v7, 0, 1, vcc
	v_lshlrev_b32_e32 v11, v11, v18
	v_cmp_ne_u32_e32 vcc, v9, v13
	v_cndmask_b32_e64 v9, 0, 1, vcc
	v_cmp_ne_u32_e32 vcc, v11, v15
	v_cndmask_b32_e64 v11, 0, 1, vcc
	v_or_b32_e32 v9, v17, v9
	v_cmp_gt_i32_e32 vcc, 1, v10
	v_cndmask_b32_e32 v9, v14, v9, vcc
	v_or_b32_e32 v11, v18, v11
	v_cmp_gt_i32_e32 vcc, 1, v12
	v_and_b32_e32 v13, 7, v9
	v_cndmask_b32_e32 v11, v16, v11, vcc
	v_cmp_lt_i32_e32 vcc, 5, v13
	v_cmp_eq_u32_e64 s[0:1], 3, v13
	v_lshrrev_b32_e32 v9, 2, v9
	v_and_b32_e32 v14, 7, v11
	s_or_b64 vcc, s[0:1], vcc
	v_cmp_lt_i32_e64 s[2:3], 5, v14
	v_cmp_eq_u32_e64 s[4:5], 3, v14
	v_addc_co_u32_e32 v9, vcc, 0, v9, vcc
	v_lshrrev_b32_e32 v11, 2, v11
	s_or_b64 vcc, s[4:5], s[2:3]
	v_addc_co_u32_e32 v11, vcc, 0, v11, vcc
	v_cmp_gt_i32_e32 vcc, 31, v10
	v_cndmask_b32_e32 v9, v0, v9, vcc
	v_cmp_gt_i32_e32 vcc, 31, v12
	v_lshl_or_b32 v5, v5, 9, v0
	v_cndmask_b32_e32 v11, v0, v11, vcc
	v_cmp_eq_u32_e32 vcc, s18, v10
	v_lshrrev_b32_e32 v6, 16, v6
	v_lshl_or_b32 v7, v7, 9, v0
	v_cndmask_b32_e32 v5, v9, v5, vcc
	v_cmp_eq_u32_e32 vcc, s18, v12
	v_lshrrev_b32_e32 v8, 16, v8
	v_cndmask_b32_e32 v7, v11, v7, vcc
	v_and_or_b32 v5, v6, s17, v5
	v_and_or_b32 v6, v8, s17, v7
	v_and_b32_e32 v5, 0xffff, v5
	v_lshl_or_b32 v5, v6, 16, v5
	global_store_dword v[3:4], v5, off
	global_load_dword v7, v27, s[6:7] offset:648
	ds_read2_b32 v[5:6], v25 offset0:162 offset1:180
	v_add_co_u32_e32 v3, vcc, s11, v3
	s_waitcnt lgkmcnt(0)
	v_lshrrev_b32_e32 v8, 16, v5
	s_waitcnt vmcnt(0)
	v_mul_f16_sdwa v9, v8, v7 dst_sel:DWORD dst_unused:UNUSED_PAD src0_sel:DWORD src1_sel:WORD_1
	v_fma_f16 v9, v5, v7, v9
	v_mul_f16_sdwa v5, v5, v7 dst_sel:DWORD dst_unused:UNUSED_PAD src0_sel:DWORD src1_sel:WORD_1
	v_cvt_f32_f16_e32 v9, v9
	v_fma_f16 v5, v7, v8, -v5
	v_cvt_f32_f16_e32 v5, v5
	v_cvt_f64_f32_e32 v[7:8], v9
	v_cvt_f64_f32_e32 v[9:10], v5
	v_mov_b32_e32 v5, s12
	v_mul_f64 v[7:8], v[7:8], s[14:15]
	v_addc_co_u32_e32 v4, vcc, v4, v5, vcc
	v_mul_f64 v[9:10], v[9:10], s[14:15]
	v_and_or_b32 v5, v8, s16, v7
	v_cmp_ne_u32_e32 vcc, 0, v5
	v_lshrrev_b32_e32 v7, 8, v8
	v_and_or_b32 v9, v10, s16, v9
	v_bfe_u32 v11, v8, 20, 11
	v_cndmask_b32_e64 v5, 0, 1, vcc
	v_cmp_ne_u32_e32 vcc, 0, v9
	v_lshrrev_b32_e32 v12, 8, v10
	v_bfe_u32 v13, v10, 20, 11
	v_sub_u32_e32 v14, 0x3f1, v11
	v_cndmask_b32_e64 v9, 0, 1, vcc
	v_and_or_b32 v5, v7, s10, v5
	v_sub_u32_e32 v15, 0x3f1, v13
	v_med3_i32 v7, v14, 0, 13
	v_and_or_b32 v9, v12, s10, v9
	v_or_b32_e32 v14, 0x1000, v5
	v_add_u32_e32 v11, 0xfffffc10, v11
	v_med3_i32 v12, v15, 0, 13
	v_cmp_ne_u32_e32 vcc, 0, v5
	v_or_b32_e32 v16, 0x1000, v9
	v_lshrrev_b32_e32 v18, v7, v14
	v_add_u32_e32 v13, 0xfffffc10, v13
	v_lshl_or_b32 v15, v11, 12, v5
	v_cndmask_b32_e64 v5, 0, 1, vcc
	v_cmp_ne_u32_e32 vcc, 0, v9
	v_lshrrev_b32_e32 v19, v12, v16
	v_lshlrev_b32_e32 v7, v7, v18
	v_lshl_or_b32 v17, v13, 12, v9
	v_cndmask_b32_e64 v9, 0, 1, vcc
	v_lshlrev_b32_e32 v12, v12, v19
	v_cmp_ne_u32_e32 vcc, v7, v14
	v_cndmask_b32_e64 v7, 0, 1, vcc
	v_cmp_ne_u32_e32 vcc, v12, v16
	v_cndmask_b32_e64 v12, 0, 1, vcc
	v_or_b32_e32 v7, v18, v7
	v_cmp_gt_i32_e32 vcc, 1, v11
	v_cndmask_b32_e32 v7, v15, v7, vcc
	v_or_b32_e32 v12, v19, v12
	v_cmp_gt_i32_e32 vcc, 1, v13
	v_and_b32_e32 v14, 7, v7
	v_cndmask_b32_e32 v12, v17, v12, vcc
	v_cmp_lt_i32_e32 vcc, 5, v14
	v_cmp_eq_u32_e64 s[0:1], 3, v14
	v_lshrrev_b32_e32 v7, 2, v7
	v_and_b32_e32 v15, 7, v12
	s_or_b64 vcc, s[0:1], vcc
	v_cmp_lt_i32_e64 s[2:3], 5, v15
	v_cmp_eq_u32_e64 s[4:5], 3, v15
	v_addc_co_u32_e32 v7, vcc, 0, v7, vcc
	v_lshrrev_b32_e32 v12, 2, v12
	s_or_b64 vcc, s[4:5], s[2:3]
	v_addc_co_u32_e32 v12, vcc, 0, v12, vcc
	v_cmp_gt_i32_e32 vcc, 31, v11
	v_cndmask_b32_e32 v7, v0, v7, vcc
	v_cmp_gt_i32_e32 vcc, 31, v13
	v_lshl_or_b32 v5, v5, 9, v0
	v_cndmask_b32_e32 v12, v0, v12, vcc
	v_cmp_eq_u32_e32 vcc, s18, v11
	v_lshrrev_b32_e32 v8, 16, v8
	v_lshl_or_b32 v9, v9, 9, v0
	v_cndmask_b32_e32 v5, v7, v5, vcc
	v_cmp_eq_u32_e32 vcc, s18, v13
	v_lshrrev_b32_e32 v10, 16, v10
	v_cndmask_b32_e32 v7, v12, v9, vcc
	v_and_or_b32 v5, v8, s17, v5
	v_and_or_b32 v7, v10, s17, v7
	v_and_b32_e32 v5, 0xffff, v5
	v_lshl_or_b32 v5, v7, 16, v5
	global_store_dword v[3:4], v5, off
	global_load_dword v5, v27, s[6:7] offset:720
	v_lshrrev_b32_e32 v7, 16, v6
	v_mov_b32_e32 v9, s12
	v_add_co_u32_e32 v3, vcc, s11, v3
	v_addc_co_u32_e32 v4, vcc, v4, v9, vcc
	s_waitcnt vmcnt(0)
	v_mul_f16_sdwa v8, v7, v5 dst_sel:DWORD dst_unused:UNUSED_PAD src0_sel:DWORD src1_sel:WORD_1
	v_fma_f16 v8, v6, v5, v8
	v_mul_f16_sdwa v6, v6, v5 dst_sel:DWORD dst_unused:UNUSED_PAD src0_sel:DWORD src1_sel:WORD_1
	v_cvt_f32_f16_e32 v8, v8
	v_fma_f16 v5, v5, v7, -v6
	v_cvt_f32_f16_e32 v7, v5
	v_cvt_f64_f32_e32 v[5:6], v8
	v_cvt_f64_f32_e32 v[7:8], v7
	v_mul_f64 v[5:6], v[5:6], s[14:15]
	v_mul_f64 v[7:8], v[7:8], s[14:15]
	v_and_or_b32 v5, v6, s16, v5
	v_cmp_ne_u32_e32 vcc, 0, v5
	v_and_or_b32 v7, v8, s16, v7
	v_lshrrev_b32_e32 v9, 8, v6
	v_bfe_u32 v10, v6, 20, 11
	v_cndmask_b32_e64 v5, 0, 1, vcc
	v_cmp_ne_u32_e32 vcc, 0, v7
	v_lshrrev_b32_e32 v11, 8, v8
	v_bfe_u32 v12, v8, 20, 11
	v_sub_u32_e32 v13, 0x3f1, v10
	v_cndmask_b32_e64 v7, 0, 1, vcc
	v_and_or_b32 v5, v9, s10, v5
	v_sub_u32_e32 v14, 0x3f1, v12
	v_med3_i32 v9, v13, 0, 13
	v_and_or_b32 v7, v11, s10, v7
	v_or_b32_e32 v13, 0x1000, v5
	v_add_u32_e32 v10, 0xfffffc10, v10
	v_med3_i32 v11, v14, 0, 13
	v_cmp_ne_u32_e32 vcc, 0, v5
	v_or_b32_e32 v15, 0x1000, v7
	v_lshrrev_b32_e32 v17, v9, v13
	v_add_u32_e32 v12, 0xfffffc10, v12
	v_lshl_or_b32 v14, v10, 12, v5
	v_cndmask_b32_e64 v5, 0, 1, vcc
	v_cmp_ne_u32_e32 vcc, 0, v7
	v_lshrrev_b32_e32 v18, v11, v15
	v_lshlrev_b32_e32 v9, v9, v17
	v_lshl_or_b32 v16, v12, 12, v7
	v_cndmask_b32_e64 v7, 0, 1, vcc
	v_lshlrev_b32_e32 v11, v11, v18
	v_cmp_ne_u32_e32 vcc, v9, v13
	v_cndmask_b32_e64 v9, 0, 1, vcc
	v_cmp_ne_u32_e32 vcc, v11, v15
	v_cndmask_b32_e64 v11, 0, 1, vcc
	v_or_b32_e32 v9, v17, v9
	v_cmp_gt_i32_e32 vcc, 1, v10
	v_cndmask_b32_e32 v9, v14, v9, vcc
	v_or_b32_e32 v11, v18, v11
	v_cmp_gt_i32_e32 vcc, 1, v12
	v_and_b32_e32 v13, 7, v9
	v_cndmask_b32_e32 v11, v16, v11, vcc
	v_cmp_lt_i32_e32 vcc, 5, v13
	v_cmp_eq_u32_e64 s[0:1], 3, v13
	v_lshrrev_b32_e32 v9, 2, v9
	v_and_b32_e32 v14, 7, v11
	s_or_b64 vcc, s[0:1], vcc
	v_cmp_lt_i32_e64 s[2:3], 5, v14
	v_cmp_eq_u32_e64 s[4:5], 3, v14
	v_addc_co_u32_e32 v9, vcc, 0, v9, vcc
	v_lshrrev_b32_e32 v11, 2, v11
	s_or_b64 vcc, s[4:5], s[2:3]
	v_addc_co_u32_e32 v11, vcc, 0, v11, vcc
	v_cmp_gt_i32_e32 vcc, 31, v10
	v_cndmask_b32_e32 v9, v0, v9, vcc
	v_cmp_gt_i32_e32 vcc, 31, v12
	v_lshl_or_b32 v5, v5, 9, v0
	v_cndmask_b32_e32 v11, v0, v11, vcc
	v_cmp_eq_u32_e32 vcc, s18, v10
	v_lshrrev_b32_e32 v6, 16, v6
	v_lshl_or_b32 v7, v7, 9, v0
	v_cndmask_b32_e32 v5, v9, v5, vcc
	v_cmp_eq_u32_e32 vcc, s18, v12
	v_lshrrev_b32_e32 v8, 16, v8
	v_cndmask_b32_e32 v7, v11, v7, vcc
	v_and_or_b32 v5, v6, s17, v5
	v_and_or_b32 v6, v8, s17, v7
	v_and_b32_e32 v5, 0xffff, v5
	v_lshl_or_b32 v5, v6, 16, v5
	global_store_dword v[3:4], v5, off
	global_load_dword v7, v27, s[6:7] offset:792
	ds_read2_b32 v[5:6], v25 offset0:198 offset1:216
	v_add_co_u32_e32 v3, vcc, s11, v3
	s_waitcnt lgkmcnt(0)
	v_lshrrev_b32_e32 v8, 16, v5
	s_waitcnt vmcnt(0)
	v_mul_f16_sdwa v9, v8, v7 dst_sel:DWORD dst_unused:UNUSED_PAD src0_sel:DWORD src1_sel:WORD_1
	v_fma_f16 v9, v5, v7, v9
	v_mul_f16_sdwa v5, v5, v7 dst_sel:DWORD dst_unused:UNUSED_PAD src0_sel:DWORD src1_sel:WORD_1
	v_cvt_f32_f16_e32 v9, v9
	v_fma_f16 v5, v7, v8, -v5
	v_cvt_f32_f16_e32 v5, v5
	v_cvt_f64_f32_e32 v[7:8], v9
	v_cvt_f64_f32_e32 v[9:10], v5
	v_mov_b32_e32 v5, s12
	v_mul_f64 v[7:8], v[7:8], s[14:15]
	v_addc_co_u32_e32 v4, vcc, v4, v5, vcc
	v_mul_f64 v[9:10], v[9:10], s[14:15]
	v_and_or_b32 v5, v8, s16, v7
	v_cmp_ne_u32_e32 vcc, 0, v5
	v_lshrrev_b32_e32 v7, 8, v8
	v_and_or_b32 v9, v10, s16, v9
	v_bfe_u32 v11, v8, 20, 11
	v_cndmask_b32_e64 v5, 0, 1, vcc
	v_cmp_ne_u32_e32 vcc, 0, v9
	v_lshrrev_b32_e32 v12, 8, v10
	v_bfe_u32 v13, v10, 20, 11
	v_sub_u32_e32 v14, 0x3f1, v11
	v_cndmask_b32_e64 v9, 0, 1, vcc
	v_and_or_b32 v5, v7, s10, v5
	v_sub_u32_e32 v15, 0x3f1, v13
	v_med3_i32 v7, v14, 0, 13
	v_and_or_b32 v9, v12, s10, v9
	v_or_b32_e32 v14, 0x1000, v5
	v_add_u32_e32 v11, 0xfffffc10, v11
	v_med3_i32 v12, v15, 0, 13
	v_cmp_ne_u32_e32 vcc, 0, v5
	v_or_b32_e32 v16, 0x1000, v9
	v_lshrrev_b32_e32 v18, v7, v14
	v_add_u32_e32 v13, 0xfffffc10, v13
	v_lshl_or_b32 v15, v11, 12, v5
	v_cndmask_b32_e64 v5, 0, 1, vcc
	v_cmp_ne_u32_e32 vcc, 0, v9
	v_lshrrev_b32_e32 v19, v12, v16
	v_lshlrev_b32_e32 v7, v7, v18
	v_lshl_or_b32 v17, v13, 12, v9
	v_cndmask_b32_e64 v9, 0, 1, vcc
	v_lshlrev_b32_e32 v12, v12, v19
	v_cmp_ne_u32_e32 vcc, v7, v14
	v_cndmask_b32_e64 v7, 0, 1, vcc
	v_cmp_ne_u32_e32 vcc, v12, v16
	v_cndmask_b32_e64 v12, 0, 1, vcc
	v_or_b32_e32 v7, v18, v7
	v_cmp_gt_i32_e32 vcc, 1, v11
	v_cndmask_b32_e32 v7, v15, v7, vcc
	v_or_b32_e32 v12, v19, v12
	v_cmp_gt_i32_e32 vcc, 1, v13
	v_and_b32_e32 v14, 7, v7
	v_cndmask_b32_e32 v12, v17, v12, vcc
	v_cmp_lt_i32_e32 vcc, 5, v14
	v_cmp_eq_u32_e64 s[0:1], 3, v14
	v_lshrrev_b32_e32 v7, 2, v7
	v_and_b32_e32 v15, 7, v12
	s_or_b64 vcc, s[0:1], vcc
	v_cmp_lt_i32_e64 s[2:3], 5, v15
	v_cmp_eq_u32_e64 s[4:5], 3, v15
	v_addc_co_u32_e32 v7, vcc, 0, v7, vcc
	v_lshrrev_b32_e32 v12, 2, v12
	s_or_b64 vcc, s[4:5], s[2:3]
	v_addc_co_u32_e32 v12, vcc, 0, v12, vcc
	v_cmp_gt_i32_e32 vcc, 31, v11
	v_cndmask_b32_e32 v7, v0, v7, vcc
	v_cmp_gt_i32_e32 vcc, 31, v13
	v_lshl_or_b32 v5, v5, 9, v0
	v_cndmask_b32_e32 v12, v0, v12, vcc
	v_cmp_eq_u32_e32 vcc, s18, v11
	v_lshrrev_b32_e32 v8, 16, v8
	v_lshl_or_b32 v9, v9, 9, v0
	v_cndmask_b32_e32 v5, v7, v5, vcc
	v_cmp_eq_u32_e32 vcc, s18, v13
	v_lshrrev_b32_e32 v10, 16, v10
	v_cndmask_b32_e32 v7, v12, v9, vcc
	v_and_or_b32 v5, v8, s17, v5
	v_and_or_b32 v7, v10, s17, v7
	v_and_b32_e32 v5, 0xffff, v5
	v_lshl_or_b32 v5, v7, 16, v5
	global_store_dword v[3:4], v5, off
	global_load_dword v5, v27, s[6:7] offset:864
	v_lshrrev_b32_e32 v7, 16, v6
	v_mov_b32_e32 v9, s12
	v_add_co_u32_e32 v3, vcc, s11, v3
	v_addc_co_u32_e32 v4, vcc, v4, v9, vcc
	s_waitcnt vmcnt(0)
	v_mul_f16_sdwa v8, v7, v5 dst_sel:DWORD dst_unused:UNUSED_PAD src0_sel:DWORD src1_sel:WORD_1
	v_fma_f16 v8, v6, v5, v8
	v_mul_f16_sdwa v6, v6, v5 dst_sel:DWORD dst_unused:UNUSED_PAD src0_sel:DWORD src1_sel:WORD_1
	v_cvt_f32_f16_e32 v8, v8
	v_fma_f16 v5, v5, v7, -v6
	v_cvt_f32_f16_e32 v7, v5
	v_cvt_f64_f32_e32 v[5:6], v8
	v_cvt_f64_f32_e32 v[7:8], v7
	v_mul_f64 v[5:6], v[5:6], s[14:15]
	v_mul_f64 v[7:8], v[7:8], s[14:15]
	v_and_or_b32 v5, v6, s16, v5
	v_cmp_ne_u32_e32 vcc, 0, v5
	v_and_or_b32 v7, v8, s16, v7
	v_lshrrev_b32_e32 v9, 8, v6
	v_bfe_u32 v10, v6, 20, 11
	v_cndmask_b32_e64 v5, 0, 1, vcc
	v_cmp_ne_u32_e32 vcc, 0, v7
	v_lshrrev_b32_e32 v11, 8, v8
	v_bfe_u32 v12, v8, 20, 11
	v_sub_u32_e32 v13, 0x3f1, v10
	v_cndmask_b32_e64 v7, 0, 1, vcc
	v_and_or_b32 v5, v9, s10, v5
	v_sub_u32_e32 v14, 0x3f1, v12
	v_med3_i32 v9, v13, 0, 13
	v_and_or_b32 v7, v11, s10, v7
	v_or_b32_e32 v13, 0x1000, v5
	v_add_u32_e32 v10, 0xfffffc10, v10
	v_med3_i32 v11, v14, 0, 13
	v_cmp_ne_u32_e32 vcc, 0, v5
	v_or_b32_e32 v15, 0x1000, v7
	v_lshrrev_b32_e32 v17, v9, v13
	v_add_u32_e32 v12, 0xfffffc10, v12
	v_lshl_or_b32 v14, v10, 12, v5
	v_cndmask_b32_e64 v5, 0, 1, vcc
	v_cmp_ne_u32_e32 vcc, 0, v7
	v_lshrrev_b32_e32 v18, v11, v15
	v_lshlrev_b32_e32 v9, v9, v17
	v_lshl_or_b32 v16, v12, 12, v7
	v_cndmask_b32_e64 v7, 0, 1, vcc
	v_lshlrev_b32_e32 v11, v11, v18
	v_cmp_ne_u32_e32 vcc, v9, v13
	v_cndmask_b32_e64 v9, 0, 1, vcc
	v_cmp_ne_u32_e32 vcc, v11, v15
	v_cndmask_b32_e64 v11, 0, 1, vcc
	v_or_b32_e32 v9, v17, v9
	v_cmp_gt_i32_e32 vcc, 1, v10
	v_cndmask_b32_e32 v9, v14, v9, vcc
	v_or_b32_e32 v11, v18, v11
	v_cmp_gt_i32_e32 vcc, 1, v12
	v_and_b32_e32 v13, 7, v9
	v_cndmask_b32_e32 v11, v16, v11, vcc
	v_cmp_lt_i32_e32 vcc, 5, v13
	v_cmp_eq_u32_e64 s[0:1], 3, v13
	v_lshrrev_b32_e32 v9, 2, v9
	v_and_b32_e32 v14, 7, v11
	s_or_b64 vcc, s[0:1], vcc
	v_cmp_lt_i32_e64 s[2:3], 5, v14
	v_cmp_eq_u32_e64 s[4:5], 3, v14
	v_addc_co_u32_e32 v9, vcc, 0, v9, vcc
	v_lshrrev_b32_e32 v11, 2, v11
	s_or_b64 vcc, s[4:5], s[2:3]
	v_addc_co_u32_e32 v11, vcc, 0, v11, vcc
	v_cmp_gt_i32_e32 vcc, 31, v10
	v_cndmask_b32_e32 v9, v0, v9, vcc
	v_cmp_gt_i32_e32 vcc, 31, v12
	v_lshl_or_b32 v5, v5, 9, v0
	v_cndmask_b32_e32 v11, v0, v11, vcc
	v_cmp_eq_u32_e32 vcc, s18, v10
	v_lshrrev_b32_e32 v6, 16, v6
	v_lshl_or_b32 v7, v7, 9, v0
	v_cndmask_b32_e32 v5, v9, v5, vcc
	v_cmp_eq_u32_e32 vcc, s18, v12
	v_lshrrev_b32_e32 v8, 16, v8
	v_cndmask_b32_e32 v7, v11, v7, vcc
	v_and_or_b32 v5, v6, s17, v5
	v_and_or_b32 v6, v8, s17, v7
	v_and_b32_e32 v5, 0xffff, v5
	v_lshl_or_b32 v5, v6, 16, v5
	global_store_dword v[3:4], v5, off
	global_load_dword v7, v27, s[6:7] offset:936
	ds_read2_b32 v[5:6], v25 offset0:234 offset1:252
	v_add_co_u32_e32 v3, vcc, s11, v3
	s_waitcnt lgkmcnt(0)
	v_lshrrev_b32_e32 v8, 16, v5
	s_waitcnt vmcnt(0)
	v_mul_f16_sdwa v9, v8, v7 dst_sel:DWORD dst_unused:UNUSED_PAD src0_sel:DWORD src1_sel:WORD_1
	v_fma_f16 v9, v5, v7, v9
	v_mul_f16_sdwa v5, v5, v7 dst_sel:DWORD dst_unused:UNUSED_PAD src0_sel:DWORD src1_sel:WORD_1
	v_cvt_f32_f16_e32 v9, v9
	v_fma_f16 v5, v7, v8, -v5
	v_cvt_f32_f16_e32 v5, v5
	v_cvt_f64_f32_e32 v[7:8], v9
	v_cvt_f64_f32_e32 v[9:10], v5
	v_mov_b32_e32 v5, s12
	v_mul_f64 v[7:8], v[7:8], s[14:15]
	v_addc_co_u32_e32 v4, vcc, v4, v5, vcc
	v_mul_f64 v[9:10], v[9:10], s[14:15]
	v_and_or_b32 v5, v8, s16, v7
	v_cmp_ne_u32_e32 vcc, 0, v5
	v_lshrrev_b32_e32 v7, 8, v8
	v_and_or_b32 v9, v10, s16, v9
	v_bfe_u32 v11, v8, 20, 11
	v_cndmask_b32_e64 v5, 0, 1, vcc
	v_cmp_ne_u32_e32 vcc, 0, v9
	v_lshrrev_b32_e32 v12, 8, v10
	v_bfe_u32 v13, v10, 20, 11
	v_sub_u32_e32 v14, 0x3f1, v11
	v_cndmask_b32_e64 v9, 0, 1, vcc
	v_and_or_b32 v5, v7, s10, v5
	v_sub_u32_e32 v15, 0x3f1, v13
	v_med3_i32 v7, v14, 0, 13
	v_and_or_b32 v9, v12, s10, v9
	v_or_b32_e32 v14, 0x1000, v5
	v_add_u32_e32 v11, 0xfffffc10, v11
	v_med3_i32 v12, v15, 0, 13
	v_cmp_ne_u32_e32 vcc, 0, v5
	v_or_b32_e32 v16, 0x1000, v9
	v_lshrrev_b32_e32 v18, v7, v14
	v_add_u32_e32 v13, 0xfffffc10, v13
	v_lshl_or_b32 v15, v11, 12, v5
	v_cndmask_b32_e64 v5, 0, 1, vcc
	v_cmp_ne_u32_e32 vcc, 0, v9
	v_lshrrev_b32_e32 v19, v12, v16
	v_lshlrev_b32_e32 v7, v7, v18
	v_lshl_or_b32 v17, v13, 12, v9
	v_cndmask_b32_e64 v9, 0, 1, vcc
	v_lshlrev_b32_e32 v12, v12, v19
	v_cmp_ne_u32_e32 vcc, v7, v14
	v_cndmask_b32_e64 v7, 0, 1, vcc
	v_cmp_ne_u32_e32 vcc, v12, v16
	v_cndmask_b32_e64 v12, 0, 1, vcc
	v_or_b32_e32 v7, v18, v7
	v_cmp_gt_i32_e32 vcc, 1, v11
	v_cndmask_b32_e32 v7, v15, v7, vcc
	v_or_b32_e32 v12, v19, v12
	v_cmp_gt_i32_e32 vcc, 1, v13
	v_and_b32_e32 v14, 7, v7
	v_cndmask_b32_e32 v12, v17, v12, vcc
	v_cmp_lt_i32_e32 vcc, 5, v14
	v_cmp_eq_u32_e64 s[0:1], 3, v14
	v_lshrrev_b32_e32 v7, 2, v7
	v_and_b32_e32 v15, 7, v12
	s_or_b64 vcc, s[0:1], vcc
	v_cmp_lt_i32_e64 s[2:3], 5, v15
	v_cmp_eq_u32_e64 s[4:5], 3, v15
	v_addc_co_u32_e32 v7, vcc, 0, v7, vcc
	v_lshrrev_b32_e32 v12, 2, v12
	s_or_b64 vcc, s[4:5], s[2:3]
	v_addc_co_u32_e32 v12, vcc, 0, v12, vcc
	v_cmp_gt_i32_e32 vcc, 31, v11
	v_cndmask_b32_e32 v7, v0, v7, vcc
	v_cmp_gt_i32_e32 vcc, 31, v13
	v_lshl_or_b32 v5, v5, 9, v0
	v_cndmask_b32_e32 v12, v0, v12, vcc
	v_cmp_eq_u32_e32 vcc, s18, v11
	v_lshrrev_b32_e32 v8, 16, v8
	v_lshl_or_b32 v9, v9, 9, v0
	v_cndmask_b32_e32 v5, v7, v5, vcc
	v_cmp_eq_u32_e32 vcc, s18, v13
	v_lshrrev_b32_e32 v10, 16, v10
	v_cndmask_b32_e32 v7, v12, v9, vcc
	v_and_or_b32 v5, v8, s17, v5
	v_and_or_b32 v7, v10, s17, v7
	v_and_b32_e32 v5, 0xffff, v5
	v_lshl_or_b32 v5, v7, 16, v5
	global_store_dword v[3:4], v5, off
	global_load_dword v5, v27, s[6:7] offset:1008
	v_lshrrev_b32_e32 v7, 16, v6
	v_mov_b32_e32 v9, s12
	v_add_co_u32_e32 v3, vcc, s11, v3
	v_addc_co_u32_e32 v4, vcc, v4, v9, vcc
	s_waitcnt vmcnt(0)
	v_mul_f16_sdwa v8, v7, v5 dst_sel:DWORD dst_unused:UNUSED_PAD src0_sel:DWORD src1_sel:WORD_1
	v_fma_f16 v8, v6, v5, v8
	v_mul_f16_sdwa v6, v6, v5 dst_sel:DWORD dst_unused:UNUSED_PAD src0_sel:DWORD src1_sel:WORD_1
	v_cvt_f32_f16_e32 v8, v8
	v_fma_f16 v5, v5, v7, -v6
	v_cvt_f32_f16_e32 v7, v5
	v_cvt_f64_f32_e32 v[5:6], v8
	v_cvt_f64_f32_e32 v[7:8], v7
	v_mul_f64 v[5:6], v[5:6], s[14:15]
	v_mul_f64 v[7:8], v[7:8], s[14:15]
	v_and_or_b32 v5, v6, s16, v5
	v_cmp_ne_u32_e32 vcc, 0, v5
	v_and_or_b32 v7, v8, s16, v7
	v_lshrrev_b32_e32 v9, 8, v6
	v_bfe_u32 v10, v6, 20, 11
	v_cndmask_b32_e64 v5, 0, 1, vcc
	v_cmp_ne_u32_e32 vcc, 0, v7
	v_lshrrev_b32_e32 v11, 8, v8
	v_bfe_u32 v12, v8, 20, 11
	v_sub_u32_e32 v13, 0x3f1, v10
	v_cndmask_b32_e64 v7, 0, 1, vcc
	v_and_or_b32 v5, v9, s10, v5
	v_sub_u32_e32 v14, 0x3f1, v12
	v_med3_i32 v9, v13, 0, 13
	v_and_or_b32 v7, v11, s10, v7
	v_or_b32_e32 v13, 0x1000, v5
	v_add_u32_e32 v10, 0xfffffc10, v10
	v_med3_i32 v11, v14, 0, 13
	v_cmp_ne_u32_e32 vcc, 0, v5
	v_or_b32_e32 v15, 0x1000, v7
	v_lshrrev_b32_e32 v17, v9, v13
	v_add_u32_e32 v12, 0xfffffc10, v12
	v_lshl_or_b32 v14, v10, 12, v5
	v_cndmask_b32_e64 v5, 0, 1, vcc
	v_cmp_ne_u32_e32 vcc, 0, v7
	v_lshrrev_b32_e32 v18, v11, v15
	v_lshlrev_b32_e32 v9, v9, v17
	v_lshl_or_b32 v16, v12, 12, v7
	v_cndmask_b32_e64 v7, 0, 1, vcc
	v_lshlrev_b32_e32 v11, v11, v18
	v_cmp_ne_u32_e32 vcc, v9, v13
	v_cndmask_b32_e64 v9, 0, 1, vcc
	v_cmp_ne_u32_e32 vcc, v11, v15
	v_cndmask_b32_e64 v11, 0, 1, vcc
	v_or_b32_e32 v9, v17, v9
	v_cmp_gt_i32_e32 vcc, 1, v10
	v_cndmask_b32_e32 v9, v14, v9, vcc
	v_or_b32_e32 v11, v18, v11
	v_cmp_gt_i32_e32 vcc, 1, v12
	v_and_b32_e32 v13, 7, v9
	v_cndmask_b32_e32 v11, v16, v11, vcc
	v_cmp_lt_i32_e32 vcc, 5, v13
	v_cmp_eq_u32_e64 s[0:1], 3, v13
	v_lshrrev_b32_e32 v9, 2, v9
	v_and_b32_e32 v14, 7, v11
	s_or_b64 vcc, s[0:1], vcc
	v_cmp_lt_i32_e64 s[2:3], 5, v14
	v_cmp_eq_u32_e64 s[4:5], 3, v14
	v_addc_co_u32_e32 v9, vcc, 0, v9, vcc
	v_lshrrev_b32_e32 v11, 2, v11
	s_or_b64 vcc, s[4:5], s[2:3]
	v_addc_co_u32_e32 v11, vcc, 0, v11, vcc
	v_cmp_gt_i32_e32 vcc, 31, v10
	v_cndmask_b32_e32 v9, v0, v9, vcc
	v_cmp_gt_i32_e32 vcc, 31, v12
	v_lshl_or_b32 v5, v5, 9, v0
	v_cndmask_b32_e32 v11, v0, v11, vcc
	v_cmp_eq_u32_e32 vcc, s18, v10
	v_lshrrev_b32_e32 v6, 16, v6
	v_lshl_or_b32 v7, v7, 9, v0
	v_cndmask_b32_e32 v5, v9, v5, vcc
	v_cmp_eq_u32_e32 vcc, s18, v12
	v_lshrrev_b32_e32 v8, 16, v8
	v_cndmask_b32_e32 v7, v11, v7, vcc
	v_and_or_b32 v5, v6, s17, v5
	v_and_or_b32 v6, v8, s17, v7
	v_and_b32_e32 v5, 0xffff, v5
	v_lshl_or_b32 v5, v6, 16, v5
	global_store_dword v[3:4], v5, off
	global_load_dword v7, v27, s[6:7] offset:1080
	v_add_u32_e32 v5, 0x400, v25
	ds_read2_b32 v[5:6], v5 offset0:14 offset1:32
	v_add_co_u32_e32 v3, vcc, s11, v3
	s_waitcnt lgkmcnt(0)
	v_lshrrev_b32_e32 v8, 16, v5
	s_waitcnt vmcnt(0)
	v_mul_f16_sdwa v9, v8, v7 dst_sel:DWORD dst_unused:UNUSED_PAD src0_sel:DWORD src1_sel:WORD_1
	v_fma_f16 v9, v5, v7, v9
	v_mul_f16_sdwa v5, v5, v7 dst_sel:DWORD dst_unused:UNUSED_PAD src0_sel:DWORD src1_sel:WORD_1
	v_cvt_f32_f16_e32 v9, v9
	v_fma_f16 v5, v7, v8, -v5
	v_cvt_f32_f16_e32 v5, v5
	v_cvt_f64_f32_e32 v[7:8], v9
	v_cvt_f64_f32_e32 v[9:10], v5
	v_mov_b32_e32 v5, s12
	v_mul_f64 v[7:8], v[7:8], s[14:15]
	v_addc_co_u32_e32 v4, vcc, v4, v5, vcc
	v_mul_f64 v[9:10], v[9:10], s[14:15]
	v_and_or_b32 v5, v8, s16, v7
	v_cmp_ne_u32_e32 vcc, 0, v5
	v_lshrrev_b32_e32 v7, 8, v8
	v_and_or_b32 v9, v10, s16, v9
	v_bfe_u32 v11, v8, 20, 11
	v_cndmask_b32_e64 v5, 0, 1, vcc
	v_cmp_ne_u32_e32 vcc, 0, v9
	v_lshrrev_b32_e32 v12, 8, v10
	v_bfe_u32 v13, v10, 20, 11
	v_sub_u32_e32 v14, 0x3f1, v11
	v_cndmask_b32_e64 v9, 0, 1, vcc
	v_and_or_b32 v5, v7, s10, v5
	v_sub_u32_e32 v15, 0x3f1, v13
	v_med3_i32 v7, v14, 0, 13
	v_and_or_b32 v9, v12, s10, v9
	v_or_b32_e32 v14, 0x1000, v5
	v_add_u32_e32 v11, 0xfffffc10, v11
	v_med3_i32 v12, v15, 0, 13
	v_cmp_ne_u32_e32 vcc, 0, v5
	v_or_b32_e32 v16, 0x1000, v9
	v_lshrrev_b32_e32 v18, v7, v14
	v_add_u32_e32 v13, 0xfffffc10, v13
	v_lshl_or_b32 v15, v11, 12, v5
	v_cndmask_b32_e64 v5, 0, 1, vcc
	v_cmp_ne_u32_e32 vcc, 0, v9
	v_lshrrev_b32_e32 v19, v12, v16
	v_lshlrev_b32_e32 v7, v7, v18
	v_lshl_or_b32 v17, v13, 12, v9
	v_cndmask_b32_e64 v9, 0, 1, vcc
	v_lshlrev_b32_e32 v12, v12, v19
	v_cmp_ne_u32_e32 vcc, v7, v14
	v_cndmask_b32_e64 v7, 0, 1, vcc
	v_cmp_ne_u32_e32 vcc, v12, v16
	v_cndmask_b32_e64 v12, 0, 1, vcc
	v_or_b32_e32 v7, v18, v7
	v_cmp_gt_i32_e32 vcc, 1, v11
	v_cndmask_b32_e32 v7, v15, v7, vcc
	v_or_b32_e32 v12, v19, v12
	v_cmp_gt_i32_e32 vcc, 1, v13
	v_and_b32_e32 v14, 7, v7
	v_cndmask_b32_e32 v12, v17, v12, vcc
	v_cmp_lt_i32_e32 vcc, 5, v14
	v_cmp_eq_u32_e64 s[0:1], 3, v14
	v_lshrrev_b32_e32 v7, 2, v7
	v_and_b32_e32 v15, 7, v12
	s_or_b64 vcc, s[0:1], vcc
	v_cmp_lt_i32_e64 s[2:3], 5, v15
	v_cmp_eq_u32_e64 s[4:5], 3, v15
	v_addc_co_u32_e32 v7, vcc, 0, v7, vcc
	v_lshrrev_b32_e32 v12, 2, v12
	s_or_b64 vcc, s[4:5], s[2:3]
	v_addc_co_u32_e32 v12, vcc, 0, v12, vcc
	v_cmp_gt_i32_e32 vcc, 31, v11
	v_cndmask_b32_e32 v7, v0, v7, vcc
	v_cmp_gt_i32_e32 vcc, 31, v13
	v_lshl_or_b32 v5, v5, 9, v0
	v_cndmask_b32_e32 v12, v0, v12, vcc
	v_cmp_eq_u32_e32 vcc, s18, v11
	v_lshrrev_b32_e32 v8, 16, v8
	v_lshl_or_b32 v9, v9, 9, v0
	v_cndmask_b32_e32 v5, v7, v5, vcc
	v_cmp_eq_u32_e32 vcc, s18, v13
	v_lshrrev_b32_e32 v10, 16, v10
	v_cndmask_b32_e32 v7, v12, v9, vcc
	v_and_or_b32 v5, v8, s17, v5
	v_and_or_b32 v7, v10, s17, v7
	v_and_b32_e32 v5, 0xffff, v5
	v_lshl_or_b32 v5, v7, 16, v5
	global_store_dword v[3:4], v5, off
	global_load_dword v5, v27, s[6:7] offset:1152
	v_lshrrev_b32_e32 v7, 16, v6
	v_or_b32_e32 v9, 0x120, v26
	v_mad_u64_u32 v[3:4], s[0:1], s8, v9, 0
	s_waitcnt vmcnt(0)
	v_mul_f16_sdwa v8, v7, v5 dst_sel:DWORD dst_unused:UNUSED_PAD src0_sel:DWORD src1_sel:WORD_1
	v_fma_f16 v8, v6, v5, v8
	v_cvt_f32_f16_e32 v8, v8
	v_mul_f16_sdwa v6, v6, v5 dst_sel:DWORD dst_unused:UNUSED_PAD src0_sel:DWORD src1_sel:WORD_1
	v_fma_f16 v5, v5, v7, -v6
	v_cvt_f32_f16_e32 v7, v5
	v_cvt_f64_f32_e32 v[5:6], v8
	v_cvt_f64_f32_e32 v[7:8], v7
	v_mul_f64 v[5:6], v[5:6], s[14:15]
	v_mul_f64 v[7:8], v[7:8], s[14:15]
	v_mad_u64_u32 v[9:10], s[0:1], s9, v9, v[4:5]
	v_and_or_b32 v5, v6, s16, v5
	v_and_or_b32 v7, v8, s16, v7
	v_cmp_ne_u32_e32 vcc, 0, v5
	v_mov_b32_e32 v4, v9
	v_lshrrev_b32_e32 v9, 8, v6
	v_bfe_u32 v10, v6, 20, 11
	v_cndmask_b32_e64 v5, 0, 1, vcc
	v_cmp_ne_u32_e32 vcc, 0, v7
	v_lshrrev_b32_e32 v11, 8, v8
	v_bfe_u32 v12, v8, 20, 11
	v_sub_u32_e32 v13, 0x3f1, v10
	v_cndmask_b32_e64 v7, 0, 1, vcc
	v_and_or_b32 v5, v9, s10, v5
	v_sub_u32_e32 v14, 0x3f1, v12
	v_med3_i32 v9, v13, 0, 13
	v_and_or_b32 v7, v11, s10, v7
	v_or_b32_e32 v13, 0x1000, v5
	v_add_u32_e32 v10, 0xfffffc10, v10
	v_med3_i32 v11, v14, 0, 13
	v_cmp_ne_u32_e32 vcc, 0, v5
	v_or_b32_e32 v15, 0x1000, v7
	v_lshrrev_b32_e32 v17, v9, v13
	v_add_u32_e32 v12, 0xfffffc10, v12
	v_lshl_or_b32 v14, v10, 12, v5
	v_cndmask_b32_e64 v5, 0, 1, vcc
	v_cmp_ne_u32_e32 vcc, 0, v7
	v_lshrrev_b32_e32 v18, v11, v15
	v_lshlrev_b32_e32 v9, v9, v17
	v_lshl_or_b32 v16, v12, 12, v7
	v_cndmask_b32_e64 v7, 0, 1, vcc
	v_lshlrev_b32_e32 v11, v11, v18
	v_cmp_ne_u32_e32 vcc, v9, v13
	v_cndmask_b32_e64 v9, 0, 1, vcc
	v_cmp_ne_u32_e32 vcc, v11, v15
	v_cndmask_b32_e64 v11, 0, 1, vcc
	v_or_b32_e32 v9, v17, v9
	v_cmp_gt_i32_e32 vcc, 1, v10
	v_cndmask_b32_e32 v9, v14, v9, vcc
	v_or_b32_e32 v11, v18, v11
	v_cmp_gt_i32_e32 vcc, 1, v12
	v_and_b32_e32 v13, 7, v9
	v_cndmask_b32_e32 v11, v16, v11, vcc
	v_cmp_lt_i32_e32 vcc, 5, v13
	v_cmp_eq_u32_e64 s[0:1], 3, v13
	v_lshrrev_b32_e32 v9, 2, v9
	v_and_b32_e32 v14, 7, v11
	s_or_b64 vcc, s[0:1], vcc
	v_cmp_lt_i32_e64 s[2:3], 5, v14
	v_cmp_eq_u32_e64 s[4:5], 3, v14
	v_addc_co_u32_e32 v9, vcc, 0, v9, vcc
	v_lshrrev_b32_e32 v11, 2, v11
	s_or_b64 vcc, s[4:5], s[2:3]
	v_addc_co_u32_e32 v11, vcc, 0, v11, vcc
	v_cmp_gt_i32_e32 vcc, 31, v10
	v_cndmask_b32_e32 v9, v0, v9, vcc
	v_cmp_gt_i32_e32 vcc, 31, v12
	v_lshl_or_b32 v5, v5, 9, v0
	v_lshl_or_b32 v7, v7, 9, v0
	v_cndmask_b32_e32 v0, v0, v11, vcc
	v_cmp_eq_u32_e32 vcc, s18, v10
	v_lshrrev_b32_e32 v6, 16, v6
	v_cndmask_b32_e32 v5, v9, v5, vcc
	v_cmp_eq_u32_e32 vcc, s18, v12
	v_lshlrev_b64 v[3:4], 2, v[3:4]
	v_lshrrev_b32_e32 v8, 16, v8
	v_cndmask_b32_e32 v0, v0, v7, vcc
	v_and_or_b32 v5, v6, s17, v5
	v_and_or_b32 v0, v8, s17, v0
	v_and_b32_e32 v5, 0xffff, v5
	v_lshl_or_b32 v5, v0, 16, v5
	v_add_co_u32_e32 v0, vcc, v1, v3
	v_addc_co_u32_e32 v1, vcc, v2, v4, vcc
	global_store_dword v[0:1], v5, off
.LBB0_23:
	s_endpgm
	.section	.rodata,"a",@progbits
	.p2align	6, 0x0
	.amdhsa_kernel bluestein_single_back_len306_dim1_half_op_CI_CI
		.amdhsa_group_segment_fixed_size 8568
		.amdhsa_private_segment_fixed_size 0
		.amdhsa_kernarg_size 104
		.amdhsa_user_sgpr_count 6
		.amdhsa_user_sgpr_private_segment_buffer 1
		.amdhsa_user_sgpr_dispatch_ptr 0
		.amdhsa_user_sgpr_queue_ptr 0
		.amdhsa_user_sgpr_kernarg_segment_ptr 1
		.amdhsa_user_sgpr_dispatch_id 0
		.amdhsa_user_sgpr_flat_scratch_init 0
		.amdhsa_user_sgpr_private_segment_size 0
		.amdhsa_uses_dynamic_stack 0
		.amdhsa_system_sgpr_private_segment_wavefront_offset 0
		.amdhsa_system_sgpr_workgroup_id_x 1
		.amdhsa_system_sgpr_workgroup_id_y 0
		.amdhsa_system_sgpr_workgroup_id_z 0
		.amdhsa_system_sgpr_workgroup_info 0
		.amdhsa_system_vgpr_workitem_id 0
		.amdhsa_next_free_vgpr 254
		.amdhsa_next_free_sgpr 39
		.amdhsa_reserve_vcc 1
		.amdhsa_reserve_flat_scratch 0
		.amdhsa_float_round_mode_32 0
		.amdhsa_float_round_mode_16_64 0
		.amdhsa_float_denorm_mode_32 3
		.amdhsa_float_denorm_mode_16_64 3
		.amdhsa_dx10_clamp 1
		.amdhsa_ieee_mode 1
		.amdhsa_fp16_overflow 0
		.amdhsa_exception_fp_ieee_invalid_op 0
		.amdhsa_exception_fp_denorm_src 0
		.amdhsa_exception_fp_ieee_div_zero 0
		.amdhsa_exception_fp_ieee_overflow 0
		.amdhsa_exception_fp_ieee_underflow 0
		.amdhsa_exception_fp_ieee_inexact 0
		.amdhsa_exception_int_div_zero 0
	.end_amdhsa_kernel
	.text
.Lfunc_end0:
	.size	bluestein_single_back_len306_dim1_half_op_CI_CI, .Lfunc_end0-bluestein_single_back_len306_dim1_half_op_CI_CI
                                        ; -- End function
	.section	.AMDGPU.csdata,"",@progbits
; Kernel info:
; codeLenInByte = 25676
; NumSgprs: 43
; NumVgprs: 254
; ScratchSize: 0
; MemoryBound: 0
; FloatMode: 240
; IeeeMode: 1
; LDSByteSize: 8568 bytes/workgroup (compile time only)
; SGPRBlocks: 5
; VGPRBlocks: 63
; NumSGPRsForWavesPerEU: 43
; NumVGPRsForWavesPerEU: 254
; Occupancy: 1
; WaveLimiterHint : 1
; COMPUTE_PGM_RSRC2:SCRATCH_EN: 0
; COMPUTE_PGM_RSRC2:USER_SGPR: 6
; COMPUTE_PGM_RSRC2:TRAP_HANDLER: 0
; COMPUTE_PGM_RSRC2:TGID_X_EN: 1
; COMPUTE_PGM_RSRC2:TGID_Y_EN: 0
; COMPUTE_PGM_RSRC2:TGID_Z_EN: 0
; COMPUTE_PGM_RSRC2:TIDIG_COMP_CNT: 0
	.type	__hip_cuid_28580484191b4a4,@object ; @__hip_cuid_28580484191b4a4
	.section	.bss,"aw",@nobits
	.globl	__hip_cuid_28580484191b4a4
__hip_cuid_28580484191b4a4:
	.byte	0                               ; 0x0
	.size	__hip_cuid_28580484191b4a4, 1

	.ident	"AMD clang version 19.0.0git (https://github.com/RadeonOpenCompute/llvm-project roc-6.4.0 25133 c7fe45cf4b819c5991fe208aaa96edf142730f1d)"
	.section	".note.GNU-stack","",@progbits
	.addrsig
	.addrsig_sym __hip_cuid_28580484191b4a4
	.amdgpu_metadata
---
amdhsa.kernels:
  - .args:
      - .actual_access:  read_only
        .address_space:  global
        .offset:         0
        .size:           8
        .value_kind:     global_buffer
      - .actual_access:  read_only
        .address_space:  global
        .offset:         8
        .size:           8
        .value_kind:     global_buffer
      - .actual_access:  read_only
        .address_space:  global
        .offset:         16
        .size:           8
        .value_kind:     global_buffer
      - .actual_access:  read_only
        .address_space:  global
        .offset:         24
        .size:           8
        .value_kind:     global_buffer
      - .actual_access:  read_only
        .address_space:  global
        .offset:         32
        .size:           8
        .value_kind:     global_buffer
      - .offset:         40
        .size:           8
        .value_kind:     by_value
      - .address_space:  global
        .offset:         48
        .size:           8
        .value_kind:     global_buffer
      - .address_space:  global
        .offset:         56
        .size:           8
        .value_kind:     global_buffer
      - .address_space:  global
        .offset:         64
        .size:           8
        .value_kind:     global_buffer
      - .address_space:  global
        .offset:         72
        .size:           8
        .value_kind:     global_buffer
      - .offset:         80
        .size:           4
        .value_kind:     by_value
      - .address_space:  global
        .offset:         88
        .size:           8
        .value_kind:     global_buffer
      - .address_space:  global
        .offset:         96
        .size:           8
        .value_kind:     global_buffer
    .group_segment_fixed_size: 8568
    .kernarg_segment_align: 8
    .kernarg_segment_size: 104
    .language:       OpenCL C
    .language_version:
      - 2
      - 0
    .max_flat_workgroup_size: 238
    .name:           bluestein_single_back_len306_dim1_half_op_CI_CI
    .private_segment_fixed_size: 0
    .sgpr_count:     43
    .sgpr_spill_count: 0
    .symbol:         bluestein_single_back_len306_dim1_half_op_CI_CI.kd
    .uniform_work_group_size: 1
    .uses_dynamic_stack: false
    .vgpr_count:     254
    .vgpr_spill_count: 0
    .wavefront_size: 64
amdhsa.target:   amdgcn-amd-amdhsa--gfx906
amdhsa.version:
  - 1
  - 2
...

	.end_amdgpu_metadata
